;; amdgpu-corpus repo=ROCm/vllm kind=compiled arch=gfx90a opt=O3
	.text
	.amdgcn_target "amdgcn-amd-amdhsa--gfx90a"
	.amdhsa_code_object_version 6
	.section	.text._ZN4vllm3moe17topkGatingSoftmaxILi1ELi1ELi4ELi4ELi64EiEEvPKfPKbPfiPT4_Piiii,"axG",@progbits,_ZN4vllm3moe17topkGatingSoftmaxILi1ELi1ELi4ELi4ELi64EiEEvPKfPKbPfiPT4_Piiii,comdat
	.protected	_ZN4vllm3moe17topkGatingSoftmaxILi1ELi1ELi4ELi4ELi64EiEEvPKfPKbPfiPT4_Piiii ; -- Begin function _ZN4vllm3moe17topkGatingSoftmaxILi1ELi1ELi4ELi4ELi64EiEEvPKfPKbPfiPT4_Piiii
	.globl	_ZN4vllm3moe17topkGatingSoftmaxILi1ELi1ELi4ELi4ELi64EiEEvPKfPKbPfiPT4_Piiii
	.p2align	8
	.type	_ZN4vllm3moe17topkGatingSoftmaxILi1ELi1ELi4ELi4ELi64EiEEvPKfPKbPfiPT4_Piiii,@function
_ZN4vllm3moe17topkGatingSoftmaxILi1ELi1ELi4ELi4ELi64EiEEvPKfPKbPfiPT4_Piiii: ; @_ZN4vllm3moe17topkGatingSoftmaxILi1ELi1ELi4ELi4ELi64EiEEvPKfPKbPfiPT4_Piiii
; %bb.0:
	s_load_dword s12, s[4:5], 0x18
	v_bfe_u32 v1, v0, 10, 10
	s_lshl_b32 s0, s6, 8
	v_lshlrev_b32_e32 v1, 6, v1
	v_and_b32_e32 v0, 0x3ff, v0
	v_add3_u32 v0, v1, v0, s0
	s_waitcnt lgkmcnt(0)
	v_cmp_gt_i32_e32 vcc, s12, v0
	s_and_saveexec_b64 s[0:1], vcc
	s_cbranch_execz .LBB0_6
; %bb.1:
	s_load_dwordx4 s[8:11], s[4:5], 0x0
	v_ashrrev_i32_e32 v1, 31, v0
	s_waitcnt lgkmcnt(0)
	s_cmp_eq_u64 s[10:11], 0
	s_cbranch_scc1 .LBB0_3
; %bb.2:
	v_mov_b32_e32 v3, s11
	v_add_co_u32_e32 v2, vcc, s10, v0
	v_addc_co_u32_e32 v3, vcc, v3, v1, vcc
	global_load_ubyte v2, v[2:3], off
	s_waitcnt vmcnt(0)
	v_and_b32_e32 v2, 1, v2
	v_cmp_eq_u32_e32 vcc, 1, v2
	s_xor_b64 s[0:1], vcc, -1
	s_orn2_b64 s[6:7], s[0:1], exec
	s_load_dwordx4 s[0:3], s[4:5], 0x30
	s_waitcnt lgkmcnt(0)
	s_cmp_lt_i32 s0, 1
	s_cbranch_scc0 .LBB0_4
	s_branch .LBB0_6
.LBB0_3:
	s_mov_b64 s[6:7], -1
	s_load_dwordx4 s[0:3], s[4:5], 0x30
	s_waitcnt lgkmcnt(0)
	s_cmp_lt_i32 s0, 1
	s_cbranch_scc1 .LBB0_6
.LBB0_4:
	v_lshlrev_b64 v[2:3], 2, v[0:1]
	v_mov_b32_e32 v1, s9
	v_add_co_u32_e32 v2, vcc, s8, v2
	v_addc_co_u32_e32 v3, vcc, v1, v3, vcc
	global_load_dword v4, v[2:3], off
	s_cmp_lt_i32 s1, 1
	s_load_dwordx2 s[14:15], s[4:5], 0x10
	s_load_dwordx4 s[8:11], s[4:5], 0x20
	s_mov_b32 s13, 0x3fb8aa3b
	s_cselect_b64 s[4:5], -1, 0
	s_cmp_gt_i32 s2, 0
	v_mul_lo_u32 v2, v0, s0
	s_cselect_b64 s[16:17], -1, 0
	v_ashrrev_i32_e32 v3, 31, v2
	s_sub_i32 s1, 0, s1
	s_and_b64 s[4:5], s[4:5], s[16:17]
	v_lshlrev_b64 v[6:7], 2, v[2:3]
	v_mov_b32_e32 v1, s1
	s_and_b64 vcc, s[6:7], s[4:5]
	v_cndmask_b32_e32 v1, 1, v1, vcc
	s_waitcnt lgkmcnt(0)
	v_mov_b32_e32 v3, s15
	v_add_co_u32_e32 v2, vcc, s14, v6
	v_addc_co_u32_e32 v3, vcc, v3, v7, vcc
	v_mov_b32_e32 v5, s9
	s_mov_b32 s18, 0xc2ce8ed0
	s_mov_b32 s19, 0x42b17218
	v_mov_b32_e32 v8, 0x7f800000
	v_mov_b32_e32 v9, s11
	s_mov_b32 s3, 0
	s_waitcnt vmcnt(0)
	v_sub_f32_e32 v10, v4, v4
	v_mul_f32_e32 v4, 0x3fb8aa3b, v10
	v_fma_f32 v11, v10, s13, -v4
	v_rndne_f32_e32 v12, v4
	v_fmac_f32_e32 v11, 0x32a5705f, v10
	v_sub_f32_e32 v4, v4, v12
	v_add_f32_e32 v4, v4, v11
	v_cvt_i32_f32_e32 v12, v12
	v_exp_f32_e32 v11, v4
	v_add_co_u32_e32 v4, vcc, s8, v6
	v_addc_co_u32_e32 v5, vcc, v5, v7, vcc
	v_ldexp_f32 v11, v11, v12
	v_cmp_ngt_f32_e32 vcc, s18, v10
	v_cndmask_b32_e32 v11, 0, v11, vcc
	v_cmp_nlt_f32_e32 vcc, s19, v10
	v_cndmask_b32_e32 v8, v8, v11, vcc
	v_div_scale_f32 v10, s[4:5], v8, v8, 1.0
	v_rcp_f32_e32 v11, v10
	v_add_co_u32_e32 v6, vcc, s10, v6
	v_addc_co_u32_e32 v7, vcc, v9, v7, vcc
	v_fma_f32 v12, -v10, v11, 1.0
	v_div_scale_f32 v9, vcc, 1.0, v8, 1.0
	v_fmac_f32_e32 v11, v12, v11
	v_mul_f32_e32 v12, v9, v11
	v_fma_f32 v13, -v10, v12, v9
	v_fmac_f32_e32 v12, v13, v11
	v_fma_f32 v9, -v10, v12, v9
	v_div_fmas_f32 v9, v9, v11, v12
	v_div_fixup_f32 v9, v9, v8, 1.0
	v_mul_f32_e32 v8, v8, v9
	v_mov_b32_e32 v9, 0xc61c4000
.LBB0_5:                                ; =>This Inner Loop Header: Depth=1
	global_store_dword v[2:3], v8, off
	global_store_dword v[4:5], v1, off
	;; [unrolled: 1-line block ×3, first 2 shown]
	v_add_co_u32_e32 v2, vcc, 4, v2
	v_addc_co_u32_e32 v3, vcc, 0, v3, vcc
	v_add_co_u32_e32 v4, vcc, 4, v4
	v_addc_co_u32_e32 v5, vcc, 0, v5, vcc
	s_add_i32 s3, s3, 1
	v_add_co_u32_e32 v6, vcc, 4, v6
	v_addc_co_u32_e32 v7, vcc, 0, v7, vcc
	s_cmp_ge_i32 s3, s0
	s_cselect_b64 vcc, -1, 0
	v_add_u32_e32 v0, s12, v0
	s_cmp_lg_u32 s0, s3
	v_cndmask_b32_e32 v8, v9, v8, vcc
	s_cbranch_scc1 .LBB0_5
.LBB0_6:
	s_endpgm
	.section	.rodata,"a",@progbits
	.p2align	6, 0x0
	.amdhsa_kernel _ZN4vllm3moe17topkGatingSoftmaxILi1ELi1ELi4ELi4ELi64EiEEvPKfPKbPfiPT4_Piiii
		.amdhsa_group_segment_fixed_size 0
		.amdhsa_private_segment_fixed_size 0
		.amdhsa_kernarg_size 60
		.amdhsa_user_sgpr_count 6
		.amdhsa_user_sgpr_private_segment_buffer 1
		.amdhsa_user_sgpr_dispatch_ptr 0
		.amdhsa_user_sgpr_queue_ptr 0
		.amdhsa_user_sgpr_kernarg_segment_ptr 1
		.amdhsa_user_sgpr_dispatch_id 0
		.amdhsa_user_sgpr_flat_scratch_init 0
		.amdhsa_user_sgpr_kernarg_preload_length 0
		.amdhsa_user_sgpr_kernarg_preload_offset 0
		.amdhsa_user_sgpr_private_segment_size 0
		.amdhsa_uses_dynamic_stack 0
		.amdhsa_system_sgpr_private_segment_wavefront_offset 0
		.amdhsa_system_sgpr_workgroup_id_x 1
		.amdhsa_system_sgpr_workgroup_id_y 0
		.amdhsa_system_sgpr_workgroup_id_z 0
		.amdhsa_system_sgpr_workgroup_info 0
		.amdhsa_system_vgpr_workitem_id 1
		.amdhsa_next_free_vgpr 14
		.amdhsa_next_free_sgpr 20
		.amdhsa_accum_offset 16
		.amdhsa_reserve_vcc 1
		.amdhsa_reserve_flat_scratch 0
		.amdhsa_float_round_mode_32 0
		.amdhsa_float_round_mode_16_64 0
		.amdhsa_float_denorm_mode_32 3
		.amdhsa_float_denorm_mode_16_64 3
		.amdhsa_dx10_clamp 1
		.amdhsa_ieee_mode 1
		.amdhsa_fp16_overflow 0
		.amdhsa_tg_split 0
		.amdhsa_exception_fp_ieee_invalid_op 0
		.amdhsa_exception_fp_denorm_src 0
		.amdhsa_exception_fp_ieee_div_zero 0
		.amdhsa_exception_fp_ieee_overflow 0
		.amdhsa_exception_fp_ieee_underflow 0
		.amdhsa_exception_fp_ieee_inexact 0
		.amdhsa_exception_int_div_zero 0
	.end_amdhsa_kernel
	.section	.text._ZN4vllm3moe17topkGatingSoftmaxILi1ELi1ELi4ELi4ELi64EiEEvPKfPKbPfiPT4_Piiii,"axG",@progbits,_ZN4vllm3moe17topkGatingSoftmaxILi1ELi1ELi4ELi4ELi64EiEEvPKfPKbPfiPT4_Piiii,comdat
.Lfunc_end0:
	.size	_ZN4vllm3moe17topkGatingSoftmaxILi1ELi1ELi4ELi4ELi64EiEEvPKfPKbPfiPT4_Piiii, .Lfunc_end0-_ZN4vllm3moe17topkGatingSoftmaxILi1ELi1ELi4ELi4ELi64EiEEvPKfPKbPfiPT4_Piiii
                                        ; -- End function
	.section	.AMDGPU.csdata,"",@progbits
; Kernel info:
; codeLenInByte = 584
; NumSgprs: 24
; NumVgprs: 14
; NumAgprs: 0
; TotalNumVgprs: 14
; ScratchSize: 0
; MemoryBound: 0
; FloatMode: 240
; IeeeMode: 1
; LDSByteSize: 0 bytes/workgroup (compile time only)
; SGPRBlocks: 2
; VGPRBlocks: 1
; NumSGPRsForWavesPerEU: 24
; NumVGPRsForWavesPerEU: 14
; AccumOffset: 16
; Occupancy: 8
; WaveLimiterHint : 0
; COMPUTE_PGM_RSRC2:SCRATCH_EN: 0
; COMPUTE_PGM_RSRC2:USER_SGPR: 6
; COMPUTE_PGM_RSRC2:TRAP_HANDLER: 0
; COMPUTE_PGM_RSRC2:TGID_X_EN: 1
; COMPUTE_PGM_RSRC2:TGID_Y_EN: 0
; COMPUTE_PGM_RSRC2:TGID_Z_EN: 0
; COMPUTE_PGM_RSRC2:TIDIG_COMP_CNT: 1
; COMPUTE_PGM_RSRC3_GFX90A:ACCUM_OFFSET: 3
; COMPUTE_PGM_RSRC3_GFX90A:TG_SPLIT: 0
	.section	.text._ZN4vllm3moe17topkGatingSoftmaxILi1ELi1ELi4ELi4ELi32EiEEvPKfPKbPfiPT4_Piiii,"axG",@progbits,_ZN4vllm3moe17topkGatingSoftmaxILi1ELi1ELi4ELi4ELi32EiEEvPKfPKbPfiPT4_Piiii,comdat
	.protected	_ZN4vllm3moe17topkGatingSoftmaxILi1ELi1ELi4ELi4ELi32EiEEvPKfPKbPfiPT4_Piiii ; -- Begin function _ZN4vllm3moe17topkGatingSoftmaxILi1ELi1ELi4ELi4ELi32EiEEvPKfPKbPfiPT4_Piiii
	.globl	_ZN4vllm3moe17topkGatingSoftmaxILi1ELi1ELi4ELi4ELi32EiEEvPKfPKbPfiPT4_Piiii
	.p2align	8
	.type	_ZN4vllm3moe17topkGatingSoftmaxILi1ELi1ELi4ELi4ELi32EiEEvPKfPKbPfiPT4_Piiii,@function
_ZN4vllm3moe17topkGatingSoftmaxILi1ELi1ELi4ELi4ELi32EiEEvPKfPKbPfiPT4_Piiii: ; @_ZN4vllm3moe17topkGatingSoftmaxILi1ELi1ELi4ELi4ELi32EiEEvPKfPKbPfiPT4_Piiii
; %bb.0:
	s_load_dword s12, s[4:5], 0x18
	v_bfe_u32 v1, v0, 10, 10
	s_lshl_b32 s0, s6, 7
	v_lshlrev_b32_e32 v1, 5, v1
	v_and_b32_e32 v0, 0x3ff, v0
	v_add3_u32 v0, v1, v0, s0
	s_waitcnt lgkmcnt(0)
	v_cmp_gt_i32_e32 vcc, s12, v0
	s_and_saveexec_b64 s[0:1], vcc
	s_cbranch_execz .LBB1_6
; %bb.1:
	s_load_dwordx4 s[8:11], s[4:5], 0x0
	v_ashrrev_i32_e32 v1, 31, v0
	s_waitcnt lgkmcnt(0)
	s_cmp_eq_u64 s[10:11], 0
	s_cbranch_scc1 .LBB1_3
; %bb.2:
	v_mov_b32_e32 v3, s11
	v_add_co_u32_e32 v2, vcc, s10, v0
	v_addc_co_u32_e32 v3, vcc, v3, v1, vcc
	global_load_ubyte v2, v[2:3], off
	s_waitcnt vmcnt(0)
	v_and_b32_e32 v2, 1, v2
	v_cmp_eq_u32_e32 vcc, 1, v2
	s_xor_b64 s[0:1], vcc, -1
	s_orn2_b64 s[6:7], s[0:1], exec
	s_load_dwordx4 s[0:3], s[4:5], 0x30
	s_waitcnt lgkmcnt(0)
	s_cmp_lt_i32 s0, 1
	s_cbranch_scc0 .LBB1_4
	s_branch .LBB1_6
.LBB1_3:
	s_mov_b64 s[6:7], -1
	s_load_dwordx4 s[0:3], s[4:5], 0x30
	s_waitcnt lgkmcnt(0)
	s_cmp_lt_i32 s0, 1
	s_cbranch_scc1 .LBB1_6
.LBB1_4:
	v_lshlrev_b64 v[2:3], 2, v[0:1]
	v_mov_b32_e32 v1, s9
	v_add_co_u32_e32 v2, vcc, s8, v2
	v_addc_co_u32_e32 v3, vcc, v1, v3, vcc
	global_load_dword v4, v[2:3], off
	s_cmp_lt_i32 s1, 1
	s_load_dwordx2 s[14:15], s[4:5], 0x10
	s_load_dwordx4 s[8:11], s[4:5], 0x20
	s_mov_b32 s13, 0x3fb8aa3b
	s_cselect_b64 s[4:5], -1, 0
	s_cmp_gt_i32 s2, 0
	v_mul_lo_u32 v2, v0, s0
	s_cselect_b64 s[16:17], -1, 0
	v_ashrrev_i32_e32 v3, 31, v2
	s_sub_i32 s1, 0, s1
	s_and_b64 s[4:5], s[4:5], s[16:17]
	v_lshlrev_b64 v[6:7], 2, v[2:3]
	v_mov_b32_e32 v1, s1
	s_and_b64 vcc, s[6:7], s[4:5]
	v_cndmask_b32_e32 v1, 1, v1, vcc
	s_waitcnt lgkmcnt(0)
	v_mov_b32_e32 v3, s15
	v_add_co_u32_e32 v2, vcc, s14, v6
	v_addc_co_u32_e32 v3, vcc, v3, v7, vcc
	v_mov_b32_e32 v5, s9
	s_mov_b32 s18, 0xc2ce8ed0
	s_mov_b32 s19, 0x42b17218
	v_mov_b32_e32 v8, 0x7f800000
	v_mov_b32_e32 v9, s11
	s_mov_b32 s3, 0
	s_waitcnt vmcnt(0)
	v_sub_f32_e32 v10, v4, v4
	v_mul_f32_e32 v4, 0x3fb8aa3b, v10
	v_fma_f32 v11, v10, s13, -v4
	v_rndne_f32_e32 v12, v4
	v_fmac_f32_e32 v11, 0x32a5705f, v10
	v_sub_f32_e32 v4, v4, v12
	v_add_f32_e32 v4, v4, v11
	v_cvt_i32_f32_e32 v12, v12
	v_exp_f32_e32 v11, v4
	v_add_co_u32_e32 v4, vcc, s8, v6
	v_addc_co_u32_e32 v5, vcc, v5, v7, vcc
	v_ldexp_f32 v11, v11, v12
	v_cmp_ngt_f32_e32 vcc, s18, v10
	v_cndmask_b32_e32 v11, 0, v11, vcc
	v_cmp_nlt_f32_e32 vcc, s19, v10
	v_cndmask_b32_e32 v8, v8, v11, vcc
	v_div_scale_f32 v10, s[4:5], v8, v8, 1.0
	v_rcp_f32_e32 v11, v10
	v_add_co_u32_e32 v6, vcc, s10, v6
	v_addc_co_u32_e32 v7, vcc, v9, v7, vcc
	v_fma_f32 v12, -v10, v11, 1.0
	v_div_scale_f32 v9, vcc, 1.0, v8, 1.0
	v_fmac_f32_e32 v11, v12, v11
	v_mul_f32_e32 v12, v9, v11
	v_fma_f32 v13, -v10, v12, v9
	v_fmac_f32_e32 v12, v13, v11
	v_fma_f32 v9, -v10, v12, v9
	v_div_fmas_f32 v9, v9, v11, v12
	v_div_fixup_f32 v9, v9, v8, 1.0
	v_mul_f32_e32 v8, v8, v9
	v_mov_b32_e32 v9, 0xc61c4000
.LBB1_5:                                ; =>This Inner Loop Header: Depth=1
	global_store_dword v[2:3], v8, off
	global_store_dword v[4:5], v1, off
	;; [unrolled: 1-line block ×3, first 2 shown]
	v_add_co_u32_e32 v2, vcc, 4, v2
	v_addc_co_u32_e32 v3, vcc, 0, v3, vcc
	v_add_co_u32_e32 v4, vcc, 4, v4
	v_addc_co_u32_e32 v5, vcc, 0, v5, vcc
	s_add_i32 s3, s3, 1
	v_add_co_u32_e32 v6, vcc, 4, v6
	v_addc_co_u32_e32 v7, vcc, 0, v7, vcc
	s_cmp_ge_i32 s3, s0
	s_cselect_b64 vcc, -1, 0
	v_add_u32_e32 v0, s12, v0
	s_cmp_lg_u32 s0, s3
	v_cndmask_b32_e32 v8, v9, v8, vcc
	s_cbranch_scc1 .LBB1_5
.LBB1_6:
	s_endpgm
	.section	.rodata,"a",@progbits
	.p2align	6, 0x0
	.amdhsa_kernel _ZN4vllm3moe17topkGatingSoftmaxILi1ELi1ELi4ELi4ELi32EiEEvPKfPKbPfiPT4_Piiii
		.amdhsa_group_segment_fixed_size 0
		.amdhsa_private_segment_fixed_size 0
		.amdhsa_kernarg_size 60
		.amdhsa_user_sgpr_count 6
		.amdhsa_user_sgpr_private_segment_buffer 1
		.amdhsa_user_sgpr_dispatch_ptr 0
		.amdhsa_user_sgpr_queue_ptr 0
		.amdhsa_user_sgpr_kernarg_segment_ptr 1
		.amdhsa_user_sgpr_dispatch_id 0
		.amdhsa_user_sgpr_flat_scratch_init 0
		.amdhsa_user_sgpr_kernarg_preload_length 0
		.amdhsa_user_sgpr_kernarg_preload_offset 0
		.amdhsa_user_sgpr_private_segment_size 0
		.amdhsa_uses_dynamic_stack 0
		.amdhsa_system_sgpr_private_segment_wavefront_offset 0
		.amdhsa_system_sgpr_workgroup_id_x 1
		.amdhsa_system_sgpr_workgroup_id_y 0
		.amdhsa_system_sgpr_workgroup_id_z 0
		.amdhsa_system_sgpr_workgroup_info 0
		.amdhsa_system_vgpr_workitem_id 1
		.amdhsa_next_free_vgpr 14
		.amdhsa_next_free_sgpr 20
		.amdhsa_accum_offset 16
		.amdhsa_reserve_vcc 1
		.amdhsa_reserve_flat_scratch 0
		.amdhsa_float_round_mode_32 0
		.amdhsa_float_round_mode_16_64 0
		.amdhsa_float_denorm_mode_32 3
		.amdhsa_float_denorm_mode_16_64 3
		.amdhsa_dx10_clamp 1
		.amdhsa_ieee_mode 1
		.amdhsa_fp16_overflow 0
		.amdhsa_tg_split 0
		.amdhsa_exception_fp_ieee_invalid_op 0
		.amdhsa_exception_fp_denorm_src 0
		.amdhsa_exception_fp_ieee_div_zero 0
		.amdhsa_exception_fp_ieee_overflow 0
		.amdhsa_exception_fp_ieee_underflow 0
		.amdhsa_exception_fp_ieee_inexact 0
		.amdhsa_exception_int_div_zero 0
	.end_amdhsa_kernel
	.section	.text._ZN4vllm3moe17topkGatingSoftmaxILi1ELi1ELi4ELi4ELi32EiEEvPKfPKbPfiPT4_Piiii,"axG",@progbits,_ZN4vllm3moe17topkGatingSoftmaxILi1ELi1ELi4ELi4ELi32EiEEvPKfPKbPfiPT4_Piiii,comdat
.Lfunc_end1:
	.size	_ZN4vllm3moe17topkGatingSoftmaxILi1ELi1ELi4ELi4ELi32EiEEvPKfPKbPfiPT4_Piiii, .Lfunc_end1-_ZN4vllm3moe17topkGatingSoftmaxILi1ELi1ELi4ELi4ELi32EiEEvPKfPKbPfiPT4_Piiii
                                        ; -- End function
	.section	.AMDGPU.csdata,"",@progbits
; Kernel info:
; codeLenInByte = 584
; NumSgprs: 24
; NumVgprs: 14
; NumAgprs: 0
; TotalNumVgprs: 14
; ScratchSize: 0
; MemoryBound: 0
; FloatMode: 240
; IeeeMode: 1
; LDSByteSize: 0 bytes/workgroup (compile time only)
; SGPRBlocks: 2
; VGPRBlocks: 1
; NumSGPRsForWavesPerEU: 24
; NumVGPRsForWavesPerEU: 14
; AccumOffset: 16
; Occupancy: 8
; WaveLimiterHint : 0
; COMPUTE_PGM_RSRC2:SCRATCH_EN: 0
; COMPUTE_PGM_RSRC2:USER_SGPR: 6
; COMPUTE_PGM_RSRC2:TRAP_HANDLER: 0
; COMPUTE_PGM_RSRC2:TGID_X_EN: 1
; COMPUTE_PGM_RSRC2:TGID_Y_EN: 0
; COMPUTE_PGM_RSRC2:TGID_Z_EN: 0
; COMPUTE_PGM_RSRC2:TIDIG_COMP_CNT: 1
; COMPUTE_PGM_RSRC3_GFX90A:ACCUM_OFFSET: 3
; COMPUTE_PGM_RSRC3_GFX90A:TG_SPLIT: 0
	.section	.text._ZN4vllm3moe17topkGatingSoftmaxILi2ELi2ELi4ELi8ELi64EiEEvPKfPKbPfiPT4_Piiii,"axG",@progbits,_ZN4vllm3moe17topkGatingSoftmaxILi2ELi2ELi4ELi8ELi64EiEEvPKfPKbPfiPT4_Piiii,comdat
	.protected	_ZN4vllm3moe17topkGatingSoftmaxILi2ELi2ELi4ELi8ELi64EiEEvPKfPKbPfiPT4_Piiii ; -- Begin function _ZN4vllm3moe17topkGatingSoftmaxILi2ELi2ELi4ELi8ELi64EiEEvPKfPKbPfiPT4_Piiii
	.globl	_ZN4vllm3moe17topkGatingSoftmaxILi2ELi2ELi4ELi8ELi64EiEEvPKfPKbPfiPT4_Piiii
	.p2align	8
	.type	_ZN4vllm3moe17topkGatingSoftmaxILi2ELi2ELi4ELi8ELi64EiEEvPKfPKbPfiPT4_Piiii,@function
_ZN4vllm3moe17topkGatingSoftmaxILi2ELi2ELi4ELi8ELi64EiEEvPKfPKbPfiPT4_Piiii: ; @_ZN4vllm3moe17topkGatingSoftmaxILi2ELi2ELi4ELi8ELi64EiEEvPKfPKbPfiPT4_Piiii
; %bb.0:
	s_load_dword s12, s[4:5], 0x18
	v_bfe_u32 v1, v0, 10, 10
	s_lshl_b32 s0, s6, 8
	v_lshlrev_b32_e32 v1, 6, v1
	v_and_b32_e32 v0, 0x3ff, v0
	v_add3_u32 v8, v1, v0, s0
	s_waitcnt lgkmcnt(0)
	v_cmp_gt_i32_e32 vcc, s12, v8
	s_and_saveexec_b64 s[0:1], vcc
	s_cbranch_execz .LBB2_6
; %bb.1:
	s_load_dwordx4 s[0:3], s[4:5], 0x0
	s_waitcnt lgkmcnt(0)
	s_cmp_eq_u64 s[2:3], 0
	s_cbranch_scc1 .LBB2_3
; %bb.2:
	v_ashrrev_i32_e32 v1, 31, v8
	v_mov_b32_e32 v2, s3
	v_add_co_u32_e32 v0, vcc, s2, v8
	v_addc_co_u32_e32 v1, vcc, v2, v1, vcc
	global_load_ubyte v0, v[0:1], off
	s_waitcnt vmcnt(0)
	v_and_b32_e32 v0, 1, v0
	v_cmp_eq_u32_e32 vcc, 1, v0
	s_xor_b64 s[2:3], vcc, -1
	s_orn2_b64 s[6:7], s[2:3], exec
	s_load_dwordx4 s[8:11], s[4:5], 0x30
	s_waitcnt lgkmcnt(0)
	s_cmp_lt_i32 s8, 1
	s_cbranch_scc0 .LBB2_4
	s_branch .LBB2_6
.LBB2_3:
	s_mov_b64 s[6:7], -1
	s_load_dwordx4 s[8:11], s[4:5], 0x30
	s_waitcnt lgkmcnt(0)
	s_cmp_lt_i32 s8, 1
	s_cbranch_scc1 .LBB2_6
.LBB2_4:
	v_lshlrev_b32_e32 v0, 1, v8
	v_ashrrev_i32_e32 v1, 31, v0
	v_lshlrev_b64 v[0:1], 2, v[0:1]
	v_mov_b32_e32 v2, s1
	v_add_co_u32_e32 v0, vcc, s0, v0
	v_addc_co_u32_e32 v1, vcc, v2, v1, vcc
	global_load_dwordx2 v[2:3], v[0:1], off
	s_load_dwordx2 s[14:15], s[4:5], 0x10
	s_load_dwordx4 s[0:3], s[4:5], 0x20
	s_mov_b32 s5, 0x3fb8aa3b
	v_mul_lo_u32 v0, v8, s8
	v_ashrrev_i32_e32 v1, 31, v0
	v_lshlrev_b64 v[4:5], 2, v[0:1]
	s_waitcnt lgkmcnt(0)
	v_mov_b32_e32 v1, s15
	v_add_co_u32_e32 v0, vcc, s14, v4
	v_addc_co_u32_e32 v1, vcc, v1, v5, vcc
	v_mov_b32_e32 v10, s1
	s_mov_b32 s11, 0xc2ce8ed0
	s_mov_b32 s13, 0x42b17218
	v_mov_b32_e32 v9, 0x7f800000
	v_mov_b32_e32 v11, s3
	s_mov_b32 s4, 0
	s_waitcnt vmcnt(0)
	v_max_f32_e32 v6, v3, v3
	v_max_f32_e32 v7, v2, v2
	;; [unrolled: 1-line block ×3, first 2 shown]
	v_pk_add_f32 v[6:7], v[2:3], v[6:7] op_sel_hi:[1,0] neg_lo:[0,1] neg_hi:[0,1]
	v_mul_f32_e32 v2, 0x3fb8aa3b, v7
	v_mul_f32_e32 v3, 0x3fb8aa3b, v6
	v_fma_f32 v12, v7, s5, -v2
	v_rndne_f32_e32 v13, v2
	v_fma_f32 v14, v6, s5, -v3
	v_rndne_f32_e32 v15, v3
	v_fmac_f32_e32 v12, 0x32a5705f, v7
	v_sub_f32_e32 v2, v2, v13
	v_fmac_f32_e32 v14, 0x32a5705f, v6
	v_sub_f32_e32 v3, v3, v15
	v_add_f32_e32 v2, v2, v12
	v_cvt_i32_f32_e32 v13, v13
	v_add_f32_e32 v3, v3, v14
	v_exp_f32_e32 v12, v2
	v_cvt_i32_f32_e32 v15, v15
	v_exp_f32_e32 v14, v3
	v_add_co_u32_e32 v2, vcc, s0, v4
	v_addc_co_u32_e32 v3, vcc, v10, v5, vcc
	v_ldexp_f32 v10, v12, v13
	v_cmp_ngt_f32_e32 vcc, s11, v7
	v_ldexp_f32 v12, v14, v15
	v_cndmask_b32_e32 v10, 0, v10, vcc
	v_cmp_ngt_f32_e32 vcc, s11, v6
	v_cndmask_b32_e32 v12, 0, v12, vcc
	v_cmp_nlt_f32_e32 vcc, s13, v7
	v_cndmask_b32_e32 v7, v9, v10, vcc
	v_cmp_nlt_f32_e32 vcc, s13, v6
	v_cndmask_b32_e32 v6, v9, v12, vcc
	v_add_f32_e32 v9, v6, v7
	v_div_scale_f32 v10, s[0:1], v9, v9, 1.0
	v_rcp_f32_e32 v12, v10
	v_add_co_u32_e32 v4, vcc, s2, v4
	v_addc_co_u32_e32 v5, vcc, v11, v5, vcc
	v_fma_f32 v13, -v10, v12, 1.0
	v_div_scale_f32 v11, vcc, 1.0, v9, 1.0
	v_fmac_f32_e32 v12, v13, v12
	v_mul_f32_e32 v13, v11, v12
	v_fma_f32 v14, -v10, v13, v11
	v_fmac_f32_e32 v13, v14, v12
	v_fma_f32 v10, -v10, v13, v11
	v_div_fmas_f32 v10, v10, v12, v13
	v_div_fixup_f32 v10, v10, v9, 1.0
	v_pk_mul_f32 v[6:7], v[10:11], v[6:7] op_sel_hi:[0,1]
	v_mov_b32_e32 v9, 0xc61c4000
.LBB2_5:                                ; =>This Inner Loop Header: Depth=1
	v_cmp_gt_f32_e32 vcc, v7, v6
	v_cndmask_b32_e64 v11, 0, 1, vcc
	v_cmp_le_i32_e64 s[0:1], s9, v11
	v_cmp_gt_i32_e64 s[2:3], s10, v11
	v_cndmask_b32_e32 v10, v6, v7, vcc
	s_and_b64 s[0:1], s[0:1], s[2:3]
	global_store_dword v[0:1], v10, off
	v_subrev_u32_e32 v10, s9, v11
	s_and_b64 s[0:1], s[6:7], s[0:1]
	s_add_i32 s4, s4, 1
	v_cndmask_b32_e64 v10, 2, v10, s[0:1]
	s_cmp_lt_i32 s4, s8
	global_store_dword v[2:3], v10, off
	global_store_dword v[4:5], v8, off
	v_cndmask_b32_e32 v10, v9, v6, vcc
	v_cndmask_b32_e32 v11, v7, v9, vcc
	s_cselect_b64 vcc, -1, 0
	v_cndmask_b32_e32 v7, v7, v11, vcc
	v_cndmask_b32_e32 v6, v6, v10, vcc
	v_add_co_u32_e32 v0, vcc, 4, v0
	v_addc_co_u32_e32 v1, vcc, 0, v1, vcc
	v_add_co_u32_e32 v2, vcc, 4, v2
	v_addc_co_u32_e32 v3, vcc, 0, v3, vcc
	v_add_co_u32_e32 v4, vcc, 4, v4
	v_add_u32_e32 v8, s12, v8
	s_cmp_lg_u32 s8, s4
	v_addc_co_u32_e32 v5, vcc, 0, v5, vcc
	s_cbranch_scc1 .LBB2_5
.LBB2_6:
	s_endpgm
	.section	.rodata,"a",@progbits
	.p2align	6, 0x0
	.amdhsa_kernel _ZN4vllm3moe17topkGatingSoftmaxILi2ELi2ELi4ELi8ELi64EiEEvPKfPKbPfiPT4_Piiii
		.amdhsa_group_segment_fixed_size 0
		.amdhsa_private_segment_fixed_size 0
		.amdhsa_kernarg_size 60
		.amdhsa_user_sgpr_count 6
		.amdhsa_user_sgpr_private_segment_buffer 1
		.amdhsa_user_sgpr_dispatch_ptr 0
		.amdhsa_user_sgpr_queue_ptr 0
		.amdhsa_user_sgpr_kernarg_segment_ptr 1
		.amdhsa_user_sgpr_dispatch_id 0
		.amdhsa_user_sgpr_flat_scratch_init 0
		.amdhsa_user_sgpr_kernarg_preload_length 0
		.amdhsa_user_sgpr_kernarg_preload_offset 0
		.amdhsa_user_sgpr_private_segment_size 0
		.amdhsa_uses_dynamic_stack 0
		.amdhsa_system_sgpr_private_segment_wavefront_offset 0
		.amdhsa_system_sgpr_workgroup_id_x 1
		.amdhsa_system_sgpr_workgroup_id_y 0
		.amdhsa_system_sgpr_workgroup_id_z 0
		.amdhsa_system_sgpr_workgroup_info 0
		.amdhsa_system_vgpr_workitem_id 1
		.amdhsa_next_free_vgpr 16
		.amdhsa_next_free_sgpr 16
		.amdhsa_accum_offset 16
		.amdhsa_reserve_vcc 1
		.amdhsa_reserve_flat_scratch 0
		.amdhsa_float_round_mode_32 0
		.amdhsa_float_round_mode_16_64 0
		.amdhsa_float_denorm_mode_32 3
		.amdhsa_float_denorm_mode_16_64 3
		.amdhsa_dx10_clamp 1
		.amdhsa_ieee_mode 1
		.amdhsa_fp16_overflow 0
		.amdhsa_tg_split 0
		.amdhsa_exception_fp_ieee_invalid_op 0
		.amdhsa_exception_fp_denorm_src 0
		.amdhsa_exception_fp_ieee_div_zero 0
		.amdhsa_exception_fp_ieee_overflow 0
		.amdhsa_exception_fp_ieee_underflow 0
		.amdhsa_exception_fp_ieee_inexact 0
		.amdhsa_exception_int_div_zero 0
	.end_amdhsa_kernel
	.section	.text._ZN4vllm3moe17topkGatingSoftmaxILi2ELi2ELi4ELi8ELi64EiEEvPKfPKbPfiPT4_Piiii,"axG",@progbits,_ZN4vllm3moe17topkGatingSoftmaxILi2ELi2ELi4ELi8ELi64EiEEvPKfPKbPfiPT4_Piiii,comdat
.Lfunc_end2:
	.size	_ZN4vllm3moe17topkGatingSoftmaxILi2ELi2ELi4ELi8ELi64EiEEvPKfPKbPfiPT4_Piiii, .Lfunc_end2-_ZN4vllm3moe17topkGatingSoftmaxILi2ELi2ELi4ELi8ELi64EiEEvPKfPKbPfiPT4_Piiii
                                        ; -- End function
	.section	.AMDGPU.csdata,"",@progbits
; Kernel info:
; codeLenInByte = 712
; NumSgprs: 20
; NumVgprs: 16
; NumAgprs: 0
; TotalNumVgprs: 16
; ScratchSize: 0
; MemoryBound: 0
; FloatMode: 240
; IeeeMode: 1
; LDSByteSize: 0 bytes/workgroup (compile time only)
; SGPRBlocks: 2
; VGPRBlocks: 1
; NumSGPRsForWavesPerEU: 20
; NumVGPRsForWavesPerEU: 16
; AccumOffset: 16
; Occupancy: 8
; WaveLimiterHint : 0
; COMPUTE_PGM_RSRC2:SCRATCH_EN: 0
; COMPUTE_PGM_RSRC2:USER_SGPR: 6
; COMPUTE_PGM_RSRC2:TRAP_HANDLER: 0
; COMPUTE_PGM_RSRC2:TGID_X_EN: 1
; COMPUTE_PGM_RSRC2:TGID_Y_EN: 0
; COMPUTE_PGM_RSRC2:TGID_Z_EN: 0
; COMPUTE_PGM_RSRC2:TIDIG_COMP_CNT: 1
; COMPUTE_PGM_RSRC3_GFX90A:ACCUM_OFFSET: 3
; COMPUTE_PGM_RSRC3_GFX90A:TG_SPLIT: 0
	.section	.text._ZN4vllm3moe17topkGatingSoftmaxILi2ELi2ELi4ELi8ELi32EiEEvPKfPKbPfiPT4_Piiii,"axG",@progbits,_ZN4vllm3moe17topkGatingSoftmaxILi2ELi2ELi4ELi8ELi32EiEEvPKfPKbPfiPT4_Piiii,comdat
	.protected	_ZN4vllm3moe17topkGatingSoftmaxILi2ELi2ELi4ELi8ELi32EiEEvPKfPKbPfiPT4_Piiii ; -- Begin function _ZN4vllm3moe17topkGatingSoftmaxILi2ELi2ELi4ELi8ELi32EiEEvPKfPKbPfiPT4_Piiii
	.globl	_ZN4vllm3moe17topkGatingSoftmaxILi2ELi2ELi4ELi8ELi32EiEEvPKfPKbPfiPT4_Piiii
	.p2align	8
	.type	_ZN4vllm3moe17topkGatingSoftmaxILi2ELi2ELi4ELi8ELi32EiEEvPKfPKbPfiPT4_Piiii,@function
_ZN4vllm3moe17topkGatingSoftmaxILi2ELi2ELi4ELi8ELi32EiEEvPKfPKbPfiPT4_Piiii: ; @_ZN4vllm3moe17topkGatingSoftmaxILi2ELi2ELi4ELi8ELi32EiEEvPKfPKbPfiPT4_Piiii
; %bb.0:
	s_load_dword s12, s[4:5], 0x18
	v_bfe_u32 v1, v0, 10, 10
	s_lshl_b32 s0, s6, 7
	v_lshlrev_b32_e32 v1, 5, v1
	v_and_b32_e32 v0, 0x3ff, v0
	v_add3_u32 v8, v1, v0, s0
	s_waitcnt lgkmcnt(0)
	v_cmp_gt_i32_e32 vcc, s12, v8
	s_and_saveexec_b64 s[0:1], vcc
	s_cbranch_execz .LBB3_6
; %bb.1:
	s_load_dwordx4 s[0:3], s[4:5], 0x0
	s_waitcnt lgkmcnt(0)
	s_cmp_eq_u64 s[2:3], 0
	s_cbranch_scc1 .LBB3_3
; %bb.2:
	v_ashrrev_i32_e32 v1, 31, v8
	v_mov_b32_e32 v2, s3
	v_add_co_u32_e32 v0, vcc, s2, v8
	v_addc_co_u32_e32 v1, vcc, v2, v1, vcc
	global_load_ubyte v0, v[0:1], off
	s_waitcnt vmcnt(0)
	v_and_b32_e32 v0, 1, v0
	v_cmp_eq_u32_e32 vcc, 1, v0
	s_xor_b64 s[2:3], vcc, -1
	s_orn2_b64 s[6:7], s[2:3], exec
	s_load_dwordx4 s[8:11], s[4:5], 0x30
	s_waitcnt lgkmcnt(0)
	s_cmp_lt_i32 s8, 1
	s_cbranch_scc0 .LBB3_4
	s_branch .LBB3_6
.LBB3_3:
	s_mov_b64 s[6:7], -1
	s_load_dwordx4 s[8:11], s[4:5], 0x30
	s_waitcnt lgkmcnt(0)
	s_cmp_lt_i32 s8, 1
	s_cbranch_scc1 .LBB3_6
.LBB3_4:
	v_lshlrev_b32_e32 v0, 1, v8
	v_ashrrev_i32_e32 v1, 31, v0
	v_lshlrev_b64 v[0:1], 2, v[0:1]
	v_mov_b32_e32 v2, s1
	v_add_co_u32_e32 v0, vcc, s0, v0
	v_addc_co_u32_e32 v1, vcc, v2, v1, vcc
	global_load_dwordx2 v[2:3], v[0:1], off
	s_load_dwordx2 s[14:15], s[4:5], 0x10
	s_load_dwordx4 s[0:3], s[4:5], 0x20
	s_mov_b32 s5, 0x3fb8aa3b
	v_mul_lo_u32 v0, v8, s8
	v_ashrrev_i32_e32 v1, 31, v0
	v_lshlrev_b64 v[4:5], 2, v[0:1]
	s_waitcnt lgkmcnt(0)
	v_mov_b32_e32 v1, s15
	v_add_co_u32_e32 v0, vcc, s14, v4
	v_addc_co_u32_e32 v1, vcc, v1, v5, vcc
	v_mov_b32_e32 v10, s1
	s_mov_b32 s11, 0xc2ce8ed0
	s_mov_b32 s13, 0x42b17218
	v_mov_b32_e32 v9, 0x7f800000
	v_mov_b32_e32 v11, s3
	s_mov_b32 s4, 0
	s_waitcnt vmcnt(0)
	v_max_f32_e32 v6, v3, v3
	v_max_f32_e32 v7, v2, v2
	;; [unrolled: 1-line block ×3, first 2 shown]
	v_pk_add_f32 v[6:7], v[2:3], v[6:7] op_sel_hi:[1,0] neg_lo:[0,1] neg_hi:[0,1]
	v_mul_f32_e32 v2, 0x3fb8aa3b, v7
	v_mul_f32_e32 v3, 0x3fb8aa3b, v6
	v_fma_f32 v12, v7, s5, -v2
	v_rndne_f32_e32 v13, v2
	v_fma_f32 v14, v6, s5, -v3
	v_rndne_f32_e32 v15, v3
	v_fmac_f32_e32 v12, 0x32a5705f, v7
	v_sub_f32_e32 v2, v2, v13
	v_fmac_f32_e32 v14, 0x32a5705f, v6
	v_sub_f32_e32 v3, v3, v15
	v_add_f32_e32 v2, v2, v12
	v_cvt_i32_f32_e32 v13, v13
	v_add_f32_e32 v3, v3, v14
	v_exp_f32_e32 v12, v2
	v_cvt_i32_f32_e32 v15, v15
	v_exp_f32_e32 v14, v3
	v_add_co_u32_e32 v2, vcc, s0, v4
	v_addc_co_u32_e32 v3, vcc, v10, v5, vcc
	v_ldexp_f32 v10, v12, v13
	v_cmp_ngt_f32_e32 vcc, s11, v7
	v_ldexp_f32 v12, v14, v15
	v_cndmask_b32_e32 v10, 0, v10, vcc
	v_cmp_ngt_f32_e32 vcc, s11, v6
	v_cndmask_b32_e32 v12, 0, v12, vcc
	v_cmp_nlt_f32_e32 vcc, s13, v7
	v_cndmask_b32_e32 v7, v9, v10, vcc
	v_cmp_nlt_f32_e32 vcc, s13, v6
	v_cndmask_b32_e32 v6, v9, v12, vcc
	v_add_f32_e32 v9, v6, v7
	v_div_scale_f32 v10, s[0:1], v9, v9, 1.0
	v_rcp_f32_e32 v12, v10
	v_add_co_u32_e32 v4, vcc, s2, v4
	v_addc_co_u32_e32 v5, vcc, v11, v5, vcc
	v_fma_f32 v13, -v10, v12, 1.0
	v_div_scale_f32 v11, vcc, 1.0, v9, 1.0
	v_fmac_f32_e32 v12, v13, v12
	v_mul_f32_e32 v13, v11, v12
	v_fma_f32 v14, -v10, v13, v11
	v_fmac_f32_e32 v13, v14, v12
	v_fma_f32 v10, -v10, v13, v11
	v_div_fmas_f32 v10, v10, v12, v13
	v_div_fixup_f32 v10, v10, v9, 1.0
	v_pk_mul_f32 v[6:7], v[10:11], v[6:7] op_sel_hi:[0,1]
	v_mov_b32_e32 v9, 0xc61c4000
.LBB3_5:                                ; =>This Inner Loop Header: Depth=1
	v_cmp_gt_f32_e32 vcc, v7, v6
	v_cndmask_b32_e64 v11, 0, 1, vcc
	v_cmp_le_i32_e64 s[0:1], s9, v11
	v_cmp_gt_i32_e64 s[2:3], s10, v11
	v_cndmask_b32_e32 v10, v6, v7, vcc
	s_and_b64 s[0:1], s[0:1], s[2:3]
	global_store_dword v[0:1], v10, off
	v_subrev_u32_e32 v10, s9, v11
	s_and_b64 s[0:1], s[6:7], s[0:1]
	s_add_i32 s4, s4, 1
	v_cndmask_b32_e64 v10, 2, v10, s[0:1]
	s_cmp_lt_i32 s4, s8
	global_store_dword v[2:3], v10, off
	global_store_dword v[4:5], v8, off
	v_cndmask_b32_e32 v10, v9, v6, vcc
	v_cndmask_b32_e32 v11, v7, v9, vcc
	s_cselect_b64 vcc, -1, 0
	v_cndmask_b32_e32 v7, v7, v11, vcc
	v_cndmask_b32_e32 v6, v6, v10, vcc
	v_add_co_u32_e32 v0, vcc, 4, v0
	v_addc_co_u32_e32 v1, vcc, 0, v1, vcc
	v_add_co_u32_e32 v2, vcc, 4, v2
	v_addc_co_u32_e32 v3, vcc, 0, v3, vcc
	v_add_co_u32_e32 v4, vcc, 4, v4
	v_add_u32_e32 v8, s12, v8
	s_cmp_lg_u32 s8, s4
	v_addc_co_u32_e32 v5, vcc, 0, v5, vcc
	s_cbranch_scc1 .LBB3_5
.LBB3_6:
	s_endpgm
	.section	.rodata,"a",@progbits
	.p2align	6, 0x0
	.amdhsa_kernel _ZN4vllm3moe17topkGatingSoftmaxILi2ELi2ELi4ELi8ELi32EiEEvPKfPKbPfiPT4_Piiii
		.amdhsa_group_segment_fixed_size 0
		.amdhsa_private_segment_fixed_size 0
		.amdhsa_kernarg_size 60
		.amdhsa_user_sgpr_count 6
		.amdhsa_user_sgpr_private_segment_buffer 1
		.amdhsa_user_sgpr_dispatch_ptr 0
		.amdhsa_user_sgpr_queue_ptr 0
		.amdhsa_user_sgpr_kernarg_segment_ptr 1
		.amdhsa_user_sgpr_dispatch_id 0
		.amdhsa_user_sgpr_flat_scratch_init 0
		.amdhsa_user_sgpr_kernarg_preload_length 0
		.amdhsa_user_sgpr_kernarg_preload_offset 0
		.amdhsa_user_sgpr_private_segment_size 0
		.amdhsa_uses_dynamic_stack 0
		.amdhsa_system_sgpr_private_segment_wavefront_offset 0
		.amdhsa_system_sgpr_workgroup_id_x 1
		.amdhsa_system_sgpr_workgroup_id_y 0
		.amdhsa_system_sgpr_workgroup_id_z 0
		.amdhsa_system_sgpr_workgroup_info 0
		.amdhsa_system_vgpr_workitem_id 1
		.amdhsa_next_free_vgpr 16
		.amdhsa_next_free_sgpr 16
		.amdhsa_accum_offset 16
		.amdhsa_reserve_vcc 1
		.amdhsa_reserve_flat_scratch 0
		.amdhsa_float_round_mode_32 0
		.amdhsa_float_round_mode_16_64 0
		.amdhsa_float_denorm_mode_32 3
		.amdhsa_float_denorm_mode_16_64 3
		.amdhsa_dx10_clamp 1
		.amdhsa_ieee_mode 1
		.amdhsa_fp16_overflow 0
		.amdhsa_tg_split 0
		.amdhsa_exception_fp_ieee_invalid_op 0
		.amdhsa_exception_fp_denorm_src 0
		.amdhsa_exception_fp_ieee_div_zero 0
		.amdhsa_exception_fp_ieee_overflow 0
		.amdhsa_exception_fp_ieee_underflow 0
		.amdhsa_exception_fp_ieee_inexact 0
		.amdhsa_exception_int_div_zero 0
	.end_amdhsa_kernel
	.section	.text._ZN4vllm3moe17topkGatingSoftmaxILi2ELi2ELi4ELi8ELi32EiEEvPKfPKbPfiPT4_Piiii,"axG",@progbits,_ZN4vllm3moe17topkGatingSoftmaxILi2ELi2ELi4ELi8ELi32EiEEvPKfPKbPfiPT4_Piiii,comdat
.Lfunc_end3:
	.size	_ZN4vllm3moe17topkGatingSoftmaxILi2ELi2ELi4ELi8ELi32EiEEvPKfPKbPfiPT4_Piiii, .Lfunc_end3-_ZN4vllm3moe17topkGatingSoftmaxILi2ELi2ELi4ELi8ELi32EiEEvPKfPKbPfiPT4_Piiii
                                        ; -- End function
	.section	.AMDGPU.csdata,"",@progbits
; Kernel info:
; codeLenInByte = 712
; NumSgprs: 20
; NumVgprs: 16
; NumAgprs: 0
; TotalNumVgprs: 16
; ScratchSize: 0
; MemoryBound: 0
; FloatMode: 240
; IeeeMode: 1
; LDSByteSize: 0 bytes/workgroup (compile time only)
; SGPRBlocks: 2
; VGPRBlocks: 1
; NumSGPRsForWavesPerEU: 20
; NumVGPRsForWavesPerEU: 16
; AccumOffset: 16
; Occupancy: 8
; WaveLimiterHint : 0
; COMPUTE_PGM_RSRC2:SCRATCH_EN: 0
; COMPUTE_PGM_RSRC2:USER_SGPR: 6
; COMPUTE_PGM_RSRC2:TRAP_HANDLER: 0
; COMPUTE_PGM_RSRC2:TGID_X_EN: 1
; COMPUTE_PGM_RSRC2:TGID_Y_EN: 0
; COMPUTE_PGM_RSRC2:TGID_Z_EN: 0
; COMPUTE_PGM_RSRC2:TIDIG_COMP_CNT: 1
; COMPUTE_PGM_RSRC3_GFX90A:ACCUM_OFFSET: 3
; COMPUTE_PGM_RSRC3_GFX90A:TG_SPLIT: 0
	.section	.text._ZN4vllm3moe17topkGatingSoftmaxILi4ELi4ELi4ELi16ELi64EiEEvPKfPKbPfiPT4_Piiii,"axG",@progbits,_ZN4vllm3moe17topkGatingSoftmaxILi4ELi4ELi4ELi16ELi64EiEEvPKfPKbPfiPT4_Piiii,comdat
	.protected	_ZN4vllm3moe17topkGatingSoftmaxILi4ELi4ELi4ELi16ELi64EiEEvPKfPKbPfiPT4_Piiii ; -- Begin function _ZN4vllm3moe17topkGatingSoftmaxILi4ELi4ELi4ELi16ELi64EiEEvPKfPKbPfiPT4_Piiii
	.globl	_ZN4vllm3moe17topkGatingSoftmaxILi4ELi4ELi4ELi16ELi64EiEEvPKfPKbPfiPT4_Piiii
	.p2align	8
	.type	_ZN4vllm3moe17topkGatingSoftmaxILi4ELi4ELi4ELi16ELi64EiEEvPKfPKbPfiPT4_Piiii,@function
_ZN4vllm3moe17topkGatingSoftmaxILi4ELi4ELi4ELi16ELi64EiEEvPKfPKbPfiPT4_Piiii: ; @_ZN4vllm3moe17topkGatingSoftmaxILi4ELi4ELi4ELi16ELi64EiEEvPKfPKbPfiPT4_Piiii
; %bb.0:
	s_load_dword s14, s[6:7], 0x18
	v_bfe_u32 v2, v0, 10, 10
	v_and_b32_e32 v1, 0x3ff, v0
	s_lshl_b32 s0, s8, 8
	v_lshlrev_b32_e32 v3, 6, v2
	v_add3_u32 v6, v3, v1, s0
	s_waitcnt lgkmcnt(0)
	v_cmp_gt_i32_e32 vcc, s14, v6
	s_and_saveexec_b64 s[0:1], vcc
	s_cbranch_execz .LBB4_9
; %bb.1:
	s_load_dwordx4 s[0:3], s[6:7], 0x0
	s_load_dwordx2 s[12:13], s[6:7], 0x10
	s_waitcnt lgkmcnt(0)
	s_cmp_eq_u64 s[2:3], 0
	s_cbranch_scc1 .LBB4_3
; %bb.2:
	v_ashrrev_i32_e32 v3, 31, v6
	v_mov_b32_e32 v5, s3
	v_add_co_u32_e32 v4, vcc, s2, v6
	v_addc_co_u32_e32 v5, vcc, v5, v3, vcc
	global_load_ubyte v3, v[4:5], off
	s_waitcnt vmcnt(0)
	v_and_b32_e32 v3, 1, v3
	v_cmp_eq_u32_e32 vcc, 1, v3
	s_xor_b64 s[2:3], vcc, -1
	s_orn2_b64 s[2:3], s[2:3], exec
	s_branch .LBB4_4
.LBB4_3:
	s_mov_b64 s[2:3], -1
.LBB4_4:
	v_lshlrev_b32_e32 v4, 2, v6
	v_ashrrev_i32_e32 v5, 31, v4
	v_lshlrev_b64 v[4:5], 2, v[4:5]
	v_mov_b32_e32 v3, s1
	v_add_co_u32_e32 v4, vcc, s0, v4
	v_addc_co_u32_e32 v5, vcc, v3, v5, vcc
	global_load_dwordx4 v[8:11], v[4:5], off
	s_load_dwordx4 s[8:11], s[6:7], 0x30
	s_load_dwordx2 s[0:1], s[4:5], 0x4
	v_bfe_u32 v7, v0, 20, 10
	s_mov_b32 s5, 0x3fb8aa3b
	s_waitcnt lgkmcnt(0)
	s_mov_b32 s11, 0xc2ce8ed0
	s_mov_b32 s15, 0x42b17218
	s_lshr_b32 s0, s0, 16
	s_mul_i32 s0, s0, s1
	v_mul_lo_u32 v0, s0, v1
	v_mad_u32_u24 v12, v2, s1, v0
	v_mov_b32_e32 v4, 0x7f800000
	s_mov_b32 s4, 0
	v_add_lshl_u32 v7, v12, v7, 4
	s_cmp_lt_i32 s8, 1
	s_waitcnt vmcnt(0)
	v_max_f32_e32 v0, v9, v9
	v_max_f32_e32 v1, v8, v8
	;; [unrolled: 1-line block ×3, first 2 shown]
	v_max3_f32 v0, v0, v10, v11
	v_pk_add_f32 v[2:3], v[8:9], v[0:1] op_sel_hi:[1,0] neg_lo:[0,1] neg_hi:[0,1]
	v_mul_f32_e32 v5, 0x3fb8aa3b, v3
	v_pk_add_f32 v[0:1], v[10:11], v[0:1] op_sel_hi:[1,0] neg_lo:[0,1] neg_hi:[0,1]
	v_mul_f32_e32 v8, 0x3fb8aa3b, v2
	v_fma_f32 v11, v3, s5, -v5
	v_rndne_f32_e32 v13, v5
	v_mul_f32_e32 v9, 0x3fb8aa3b, v1
	v_fma_f32 v14, v2, s5, -v8
	v_rndne_f32_e32 v15, v8
	v_fmac_f32_e32 v11, 0x32a5705f, v3
	v_sub_f32_e32 v5, v5, v13
	v_mul_f32_e32 v10, 0x3fb8aa3b, v0
	v_fma_f32 v16, v1, s5, -v9
	v_rndne_f32_e32 v17, v9
	v_fmac_f32_e32 v14, 0x32a5705f, v2
	v_sub_f32_e32 v8, v8, v15
	v_add_f32_e32 v5, v5, v11
	v_fma_f32 v18, v0, s5, -v10
	v_rndne_f32_e32 v19, v10
	v_cvt_i32_f32_e32 v13, v13
	v_fmac_f32_e32 v16, 0x32a5705f, v1
	v_sub_f32_e32 v9, v9, v17
	v_add_f32_e32 v8, v8, v14
	v_exp_f32_e32 v5, v5
	v_cvt_i32_f32_e32 v15, v15
	v_fmac_f32_e32 v18, 0x32a5705f, v0
	v_sub_f32_e32 v10, v10, v19
	v_add_f32_e32 v9, v9, v16
	v_exp_f32_e32 v8, v8
	v_cvt_i32_f32_e32 v17, v17
	v_add_f32_e32 v10, v10, v18
	v_exp_f32_e32 v9, v9
	v_cvt_i32_f32_e32 v19, v19
	v_exp_f32_e32 v10, v10
	v_ldexp_f32 v5, v5, v13
	v_cmp_ngt_f32_e32 vcc, s11, v3
	v_ldexp_f32 v8, v8, v15
	v_cndmask_b32_e32 v5, 0, v5, vcc
	v_cmp_ngt_f32_e32 vcc, s11, v2
	v_ldexp_f32 v9, v9, v17
	v_cndmask_b32_e32 v8, 0, v8, vcc
	;; [unrolled: 3-line block ×3, first 2 shown]
	v_cmp_ngt_f32_e32 vcc, s11, v0
	v_cndmask_b32_e32 v10, 0, v10, vcc
	v_cmp_nlt_f32_e32 vcc, s15, v3
	v_cndmask_b32_e32 v3, v4, v5, vcc
	v_cmp_nlt_f32_e32 vcc, s15, v2
	;; [unrolled: 2-line block ×4, first 2 shown]
	v_cndmask_b32_e32 v4, v4, v10, vcc
	v_add_f32_e32 v0, v2, v3
	v_add_f32_e32 v0, v0, v4
	;; [unrolled: 1-line block ×3, first 2 shown]
	v_div_scale_f32 v1, s[0:1], v0, v0, 1.0
	v_rcp_f32_e32 v8, v1
	v_div_scale_f32 v9, vcc, 1.0, v0, 1.0
	v_fma_f32 v10, -v1, v8, 1.0
	v_fmac_f32_e32 v8, v10, v8
	v_mul_f32_e32 v10, v9, v8
	v_fma_f32 v11, -v1, v10, v9
	v_fmac_f32_e32 v10, v11, v8
	v_fma_f32 v1, -v1, v10, v9
	v_div_fmas_f32 v1, v1, v8, v10
	v_div_fixup_f32 v8, v1, v0, 1.0
	v_pk_mul_f32 v[0:1], v[8:9], v[2:3] op_sel_hi:[0,1]
	v_pk_mul_f32 v[2:3], v[8:9], v[4:5] op_sel_hi:[0,1]
	ds_write_b128 v7, v[0:3]
	s_cbranch_scc1 .LBB4_9
; %bb.5:
	s_load_dwordx4 s[16:19], s[6:7], 0x20
	v_mul_lo_u32 v0, v6, s8
	v_ashrrev_i32_e32 v1, 31, v0
	v_lshlrev_b64 v[4:5], 2, v[0:1]
	v_mov_b32_e32 v1, s13
	v_add_co_u32_e32 v0, vcc, s12, v4
	v_addc_co_u32_e32 v1, vcc, v1, v5, vcc
	s_waitcnt lgkmcnt(0)
	v_mov_b32_e32 v3, s17
	v_add_co_u32_e32 v2, vcc, s16, v4
	v_addc_co_u32_e32 v3, vcc, v3, v5, vcc
	v_mov_b32_e32 v8, s19
	v_add_co_u32_e32 v4, vcc, s18, v4
	v_addc_co_u32_e32 v5, vcc, v8, v5, vcc
	v_mov_b32_e32 v8, 0xc61c4000
	s_branch .LBB4_7
.LBB4_6:                                ;   in Loop: Header=BB4_7 Depth=1
	v_add_co_u32_e32 v0, vcc, 4, v0
	v_addc_co_u32_e32 v1, vcc, 0, v1, vcc
	v_add_co_u32_e32 v2, vcc, 4, v2
	v_addc_co_u32_e32 v3, vcc, 0, v3, vcc
	v_add_co_u32_e32 v4, vcc, 4, v4
	v_add_u32_e32 v6, s14, v6
	s_cmp_lg_u32 s8, s4
	v_addc_co_u32_e32 v5, vcc, 0, v5, vcc
	s_cbranch_scc0 .LBB4_9
.LBB4_7:                                ; =>This Inner Loop Header: Depth=1
	ds_read_b128 v[10:13], v7
	s_add_i32 s4, s4, 1
	s_waitcnt lgkmcnt(0)
	v_cmp_gt_f32_e32 vcc, v11, v10
	v_cndmask_b32_e32 v9, v10, v11, vcc
	v_cndmask_b32_e64 v10, 0, 1, vcc
	v_cmp_gt_f32_e32 vcc, v12, v9
	v_cndmask_b32_e32 v9, v9, v12, vcc
	v_cndmask_b32_e64 v10, v10, 2, vcc
	;; [unrolled: 3-line block ×3, first 2 shown]
	v_cmp_le_i32_e32 vcc, s9, v9
	v_cmp_gt_i32_e64 s[0:1], s10, v9
	s_and_b64 s[0:1], vcc, s[0:1]
	v_subrev_u32_e32 v10, s9, v9
	s_and_b64 vcc, s[2:3], s[0:1]
	v_cndmask_b32_e32 v10, 4, v10, vcc
	s_cmp_ge_i32 s4, s8
	global_store_dword v[0:1], v11, off
	global_store_dword v[2:3], v10, off
	;; [unrolled: 1-line block ×3, first 2 shown]
	s_cbranch_scc1 .LBB4_6
; %bb.8:                                ;   in Loop: Header=BB4_7 Depth=1
	v_lshl_add_u32 v9, v9, 2, v7
	ds_write_b32 v9, v8
	s_branch .LBB4_6
.LBB4_9:
	s_endpgm
	.section	.rodata,"a",@progbits
	.p2align	6, 0x0
	.amdhsa_kernel _ZN4vllm3moe17topkGatingSoftmaxILi4ELi4ELi4ELi16ELi64EiEEvPKfPKbPfiPT4_Piiii
		.amdhsa_group_segment_fixed_size 4096
		.amdhsa_private_segment_fixed_size 0
		.amdhsa_kernarg_size 60
		.amdhsa_user_sgpr_count 8
		.amdhsa_user_sgpr_private_segment_buffer 1
		.amdhsa_user_sgpr_dispatch_ptr 1
		.amdhsa_user_sgpr_queue_ptr 0
		.amdhsa_user_sgpr_kernarg_segment_ptr 1
		.amdhsa_user_sgpr_dispatch_id 0
		.amdhsa_user_sgpr_flat_scratch_init 0
		.amdhsa_user_sgpr_kernarg_preload_length 0
		.amdhsa_user_sgpr_kernarg_preload_offset 0
		.amdhsa_user_sgpr_private_segment_size 0
		.amdhsa_uses_dynamic_stack 0
		.amdhsa_system_sgpr_private_segment_wavefront_offset 0
		.amdhsa_system_sgpr_workgroup_id_x 1
		.amdhsa_system_sgpr_workgroup_id_y 0
		.amdhsa_system_sgpr_workgroup_id_z 0
		.amdhsa_system_sgpr_workgroup_info 0
		.amdhsa_system_vgpr_workitem_id 2
		.amdhsa_next_free_vgpr 20
		.amdhsa_next_free_sgpr 20
		.amdhsa_accum_offset 20
		.amdhsa_reserve_vcc 1
		.amdhsa_reserve_flat_scratch 0
		.amdhsa_float_round_mode_32 0
		.amdhsa_float_round_mode_16_64 0
		.amdhsa_float_denorm_mode_32 3
		.amdhsa_float_denorm_mode_16_64 3
		.amdhsa_dx10_clamp 1
		.amdhsa_ieee_mode 1
		.amdhsa_fp16_overflow 0
		.amdhsa_tg_split 0
		.amdhsa_exception_fp_ieee_invalid_op 0
		.amdhsa_exception_fp_denorm_src 0
		.amdhsa_exception_fp_ieee_div_zero 0
		.amdhsa_exception_fp_ieee_overflow 0
		.amdhsa_exception_fp_ieee_underflow 0
		.amdhsa_exception_fp_ieee_inexact 0
		.amdhsa_exception_int_div_zero 0
	.end_amdhsa_kernel
	.section	.text._ZN4vllm3moe17topkGatingSoftmaxILi4ELi4ELi4ELi16ELi64EiEEvPKfPKbPfiPT4_Piiii,"axG",@progbits,_ZN4vllm3moe17topkGatingSoftmaxILi4ELi4ELi4ELi16ELi64EiEEvPKfPKbPfiPT4_Piiii,comdat
.Lfunc_end4:
	.size	_ZN4vllm3moe17topkGatingSoftmaxILi4ELi4ELi4ELi16ELi64EiEEvPKfPKbPfiPT4_Piiii, .Lfunc_end4-_ZN4vllm3moe17topkGatingSoftmaxILi4ELi4ELi4ELi16ELi64EiEEvPKfPKbPfiPT4_Piiii
                                        ; -- End function
	.section	.AMDGPU.csdata,"",@progbits
; Kernel info:
; codeLenInByte = 960
; NumSgprs: 24
; NumVgprs: 20
; NumAgprs: 0
; TotalNumVgprs: 20
; ScratchSize: 0
; MemoryBound: 0
; FloatMode: 240
; IeeeMode: 1
; LDSByteSize: 4096 bytes/workgroup (compile time only)
; SGPRBlocks: 2
; VGPRBlocks: 2
; NumSGPRsForWavesPerEU: 24
; NumVGPRsForWavesPerEU: 20
; AccumOffset: 20
; Occupancy: 8
; WaveLimiterHint : 0
; COMPUTE_PGM_RSRC2:SCRATCH_EN: 0
; COMPUTE_PGM_RSRC2:USER_SGPR: 8
; COMPUTE_PGM_RSRC2:TRAP_HANDLER: 0
; COMPUTE_PGM_RSRC2:TGID_X_EN: 1
; COMPUTE_PGM_RSRC2:TGID_Y_EN: 0
; COMPUTE_PGM_RSRC2:TGID_Z_EN: 0
; COMPUTE_PGM_RSRC2:TIDIG_COMP_CNT: 2
; COMPUTE_PGM_RSRC3_GFX90A:ACCUM_OFFSET: 4
; COMPUTE_PGM_RSRC3_GFX90A:TG_SPLIT: 0
	.section	.text._ZN4vllm3moe17topkGatingSoftmaxILi4ELi4ELi4ELi16ELi32EiEEvPKfPKbPfiPT4_Piiii,"axG",@progbits,_ZN4vllm3moe17topkGatingSoftmaxILi4ELi4ELi4ELi16ELi32EiEEvPKfPKbPfiPT4_Piiii,comdat
	.protected	_ZN4vllm3moe17topkGatingSoftmaxILi4ELi4ELi4ELi16ELi32EiEEvPKfPKbPfiPT4_Piiii ; -- Begin function _ZN4vllm3moe17topkGatingSoftmaxILi4ELi4ELi4ELi16ELi32EiEEvPKfPKbPfiPT4_Piiii
	.globl	_ZN4vllm3moe17topkGatingSoftmaxILi4ELi4ELi4ELi16ELi32EiEEvPKfPKbPfiPT4_Piiii
	.p2align	8
	.type	_ZN4vllm3moe17topkGatingSoftmaxILi4ELi4ELi4ELi16ELi32EiEEvPKfPKbPfiPT4_Piiii,@function
_ZN4vllm3moe17topkGatingSoftmaxILi4ELi4ELi4ELi16ELi32EiEEvPKfPKbPfiPT4_Piiii: ; @_ZN4vllm3moe17topkGatingSoftmaxILi4ELi4ELi4ELi16ELi32EiEEvPKfPKbPfiPT4_Piiii
; %bb.0:
	s_load_dword s14, s[6:7], 0x18
	v_bfe_u32 v2, v0, 10, 10
	v_and_b32_e32 v1, 0x3ff, v0
	s_lshl_b32 s0, s8, 7
	v_lshlrev_b32_e32 v3, 5, v2
	v_add3_u32 v6, v3, v1, s0
	s_waitcnt lgkmcnt(0)
	v_cmp_gt_i32_e32 vcc, s14, v6
	s_and_saveexec_b64 s[0:1], vcc
	s_cbranch_execz .LBB5_9
; %bb.1:
	s_load_dwordx4 s[0:3], s[6:7], 0x0
	s_load_dwordx2 s[12:13], s[6:7], 0x10
	s_waitcnt lgkmcnt(0)
	s_cmp_eq_u64 s[2:3], 0
	s_cbranch_scc1 .LBB5_3
; %bb.2:
	v_ashrrev_i32_e32 v3, 31, v6
	v_mov_b32_e32 v5, s3
	v_add_co_u32_e32 v4, vcc, s2, v6
	v_addc_co_u32_e32 v5, vcc, v5, v3, vcc
	global_load_ubyte v3, v[4:5], off
	s_waitcnt vmcnt(0)
	v_and_b32_e32 v3, 1, v3
	v_cmp_eq_u32_e32 vcc, 1, v3
	s_xor_b64 s[2:3], vcc, -1
	s_orn2_b64 s[2:3], s[2:3], exec
	s_branch .LBB5_4
.LBB5_3:
	s_mov_b64 s[2:3], -1
.LBB5_4:
	v_lshlrev_b32_e32 v4, 2, v6
	v_ashrrev_i32_e32 v5, 31, v4
	v_lshlrev_b64 v[4:5], 2, v[4:5]
	v_mov_b32_e32 v3, s1
	v_add_co_u32_e32 v4, vcc, s0, v4
	v_addc_co_u32_e32 v5, vcc, v3, v5, vcc
	global_load_dwordx4 v[8:11], v[4:5], off
	s_load_dwordx4 s[8:11], s[6:7], 0x30
	s_load_dwordx2 s[0:1], s[4:5], 0x4
	v_bfe_u32 v7, v0, 20, 10
	s_mov_b32 s5, 0x3fb8aa3b
	s_waitcnt lgkmcnt(0)
	s_mov_b32 s11, 0xc2ce8ed0
	s_mov_b32 s15, 0x42b17218
	s_lshr_b32 s0, s0, 16
	v_mul_u32_u24_e32 v0, s1, v2
	s_mul_i32 s0, s0, s1
	v_mad_u32_u24 v12, s0, v1, v0
	v_mov_b32_e32 v4, 0x7f800000
	s_mov_b32 s4, 0
	v_add_lshl_u32 v7, v12, v7, 4
	s_cmp_lt_i32 s8, 1
	s_waitcnt vmcnt(0)
	v_max_f32_e32 v0, v9, v9
	v_max_f32_e32 v1, v8, v8
	;; [unrolled: 1-line block ×3, first 2 shown]
	v_max3_f32 v0, v0, v10, v11
	v_pk_add_f32 v[2:3], v[8:9], v[0:1] op_sel_hi:[1,0] neg_lo:[0,1] neg_hi:[0,1]
	v_mul_f32_e32 v5, 0x3fb8aa3b, v3
	v_pk_add_f32 v[0:1], v[10:11], v[0:1] op_sel_hi:[1,0] neg_lo:[0,1] neg_hi:[0,1]
	v_mul_f32_e32 v8, 0x3fb8aa3b, v2
	v_fma_f32 v11, v3, s5, -v5
	v_rndne_f32_e32 v13, v5
	v_mul_f32_e32 v9, 0x3fb8aa3b, v1
	v_fma_f32 v14, v2, s5, -v8
	v_rndne_f32_e32 v15, v8
	v_fmac_f32_e32 v11, 0x32a5705f, v3
	v_sub_f32_e32 v5, v5, v13
	v_mul_f32_e32 v10, 0x3fb8aa3b, v0
	v_fma_f32 v16, v1, s5, -v9
	v_rndne_f32_e32 v17, v9
	v_fmac_f32_e32 v14, 0x32a5705f, v2
	v_sub_f32_e32 v8, v8, v15
	v_add_f32_e32 v5, v5, v11
	v_fma_f32 v18, v0, s5, -v10
	v_rndne_f32_e32 v19, v10
	v_cvt_i32_f32_e32 v13, v13
	v_fmac_f32_e32 v16, 0x32a5705f, v1
	v_sub_f32_e32 v9, v9, v17
	v_add_f32_e32 v8, v8, v14
	v_exp_f32_e32 v5, v5
	v_cvt_i32_f32_e32 v15, v15
	v_fmac_f32_e32 v18, 0x32a5705f, v0
	v_sub_f32_e32 v10, v10, v19
	v_add_f32_e32 v9, v9, v16
	v_exp_f32_e32 v8, v8
	v_cvt_i32_f32_e32 v17, v17
	v_add_f32_e32 v10, v10, v18
	v_exp_f32_e32 v9, v9
	v_cvt_i32_f32_e32 v19, v19
	v_exp_f32_e32 v10, v10
	v_ldexp_f32 v5, v5, v13
	v_cmp_ngt_f32_e32 vcc, s11, v3
	v_ldexp_f32 v8, v8, v15
	v_cndmask_b32_e32 v5, 0, v5, vcc
	v_cmp_ngt_f32_e32 vcc, s11, v2
	v_ldexp_f32 v9, v9, v17
	v_cndmask_b32_e32 v8, 0, v8, vcc
	;; [unrolled: 3-line block ×3, first 2 shown]
	v_cmp_ngt_f32_e32 vcc, s11, v0
	v_cndmask_b32_e32 v10, 0, v10, vcc
	v_cmp_nlt_f32_e32 vcc, s15, v3
	v_cndmask_b32_e32 v3, v4, v5, vcc
	v_cmp_nlt_f32_e32 vcc, s15, v2
	;; [unrolled: 2-line block ×4, first 2 shown]
	v_cndmask_b32_e32 v4, v4, v10, vcc
	v_add_f32_e32 v0, v2, v3
	v_add_f32_e32 v0, v0, v4
	;; [unrolled: 1-line block ×3, first 2 shown]
	v_div_scale_f32 v1, s[0:1], v0, v0, 1.0
	v_rcp_f32_e32 v8, v1
	v_div_scale_f32 v9, vcc, 1.0, v0, 1.0
	v_fma_f32 v10, -v1, v8, 1.0
	v_fmac_f32_e32 v8, v10, v8
	v_mul_f32_e32 v10, v9, v8
	v_fma_f32 v11, -v1, v10, v9
	v_fmac_f32_e32 v10, v11, v8
	v_fma_f32 v1, -v1, v10, v9
	v_div_fmas_f32 v1, v1, v8, v10
	v_div_fixup_f32 v8, v1, v0, 1.0
	v_pk_mul_f32 v[0:1], v[8:9], v[2:3] op_sel_hi:[0,1]
	v_pk_mul_f32 v[2:3], v[8:9], v[4:5] op_sel_hi:[0,1]
	ds_write_b128 v7, v[0:3]
	s_cbranch_scc1 .LBB5_9
; %bb.5:
	s_load_dwordx4 s[16:19], s[6:7], 0x20
	v_mul_lo_u32 v0, v6, s8
	v_ashrrev_i32_e32 v1, 31, v0
	v_lshlrev_b64 v[4:5], 2, v[0:1]
	v_mov_b32_e32 v1, s13
	v_add_co_u32_e32 v0, vcc, s12, v4
	v_addc_co_u32_e32 v1, vcc, v1, v5, vcc
	s_waitcnt lgkmcnt(0)
	v_mov_b32_e32 v3, s17
	v_add_co_u32_e32 v2, vcc, s16, v4
	v_addc_co_u32_e32 v3, vcc, v3, v5, vcc
	v_mov_b32_e32 v8, s19
	v_add_co_u32_e32 v4, vcc, s18, v4
	v_addc_co_u32_e32 v5, vcc, v8, v5, vcc
	v_mov_b32_e32 v8, 0xc61c4000
	s_branch .LBB5_7
.LBB5_6:                                ;   in Loop: Header=BB5_7 Depth=1
	v_add_co_u32_e32 v0, vcc, 4, v0
	v_addc_co_u32_e32 v1, vcc, 0, v1, vcc
	v_add_co_u32_e32 v2, vcc, 4, v2
	v_addc_co_u32_e32 v3, vcc, 0, v3, vcc
	v_add_co_u32_e32 v4, vcc, 4, v4
	v_add_u32_e32 v6, s14, v6
	s_cmp_lg_u32 s8, s4
	v_addc_co_u32_e32 v5, vcc, 0, v5, vcc
	s_cbranch_scc0 .LBB5_9
.LBB5_7:                                ; =>This Inner Loop Header: Depth=1
	ds_read_b128 v[10:13], v7
	s_add_i32 s4, s4, 1
	s_waitcnt lgkmcnt(0)
	v_cmp_gt_f32_e32 vcc, v11, v10
	v_cndmask_b32_e32 v9, v10, v11, vcc
	v_cndmask_b32_e64 v10, 0, 1, vcc
	v_cmp_gt_f32_e32 vcc, v12, v9
	v_cndmask_b32_e32 v9, v9, v12, vcc
	v_cndmask_b32_e64 v10, v10, 2, vcc
	;; [unrolled: 3-line block ×3, first 2 shown]
	v_cmp_le_i32_e32 vcc, s9, v9
	v_cmp_gt_i32_e64 s[0:1], s10, v9
	s_and_b64 s[0:1], vcc, s[0:1]
	v_subrev_u32_e32 v10, s9, v9
	s_and_b64 vcc, s[2:3], s[0:1]
	v_cndmask_b32_e32 v10, 4, v10, vcc
	s_cmp_ge_i32 s4, s8
	global_store_dword v[0:1], v11, off
	global_store_dword v[2:3], v10, off
	;; [unrolled: 1-line block ×3, first 2 shown]
	s_cbranch_scc1 .LBB5_6
; %bb.8:                                ;   in Loop: Header=BB5_7 Depth=1
	v_lshl_add_u32 v9, v9, 2, v7
	ds_write_b32 v9, v8
	s_branch .LBB5_6
.LBB5_9:
	s_endpgm
	.section	.rodata,"a",@progbits
	.p2align	6, 0x0
	.amdhsa_kernel _ZN4vllm3moe17topkGatingSoftmaxILi4ELi4ELi4ELi16ELi32EiEEvPKfPKbPfiPT4_Piiii
		.amdhsa_group_segment_fixed_size 2048
		.amdhsa_private_segment_fixed_size 0
		.amdhsa_kernarg_size 60
		.amdhsa_user_sgpr_count 8
		.amdhsa_user_sgpr_private_segment_buffer 1
		.amdhsa_user_sgpr_dispatch_ptr 1
		.amdhsa_user_sgpr_queue_ptr 0
		.amdhsa_user_sgpr_kernarg_segment_ptr 1
		.amdhsa_user_sgpr_dispatch_id 0
		.amdhsa_user_sgpr_flat_scratch_init 0
		.amdhsa_user_sgpr_kernarg_preload_length 0
		.amdhsa_user_sgpr_kernarg_preload_offset 0
		.amdhsa_user_sgpr_private_segment_size 0
		.amdhsa_uses_dynamic_stack 0
		.amdhsa_system_sgpr_private_segment_wavefront_offset 0
		.amdhsa_system_sgpr_workgroup_id_x 1
		.amdhsa_system_sgpr_workgroup_id_y 0
		.amdhsa_system_sgpr_workgroup_id_z 0
		.amdhsa_system_sgpr_workgroup_info 0
		.amdhsa_system_vgpr_workitem_id 2
		.amdhsa_next_free_vgpr 20
		.amdhsa_next_free_sgpr 20
		.amdhsa_accum_offset 20
		.amdhsa_reserve_vcc 1
		.amdhsa_reserve_flat_scratch 0
		.amdhsa_float_round_mode_32 0
		.amdhsa_float_round_mode_16_64 0
		.amdhsa_float_denorm_mode_32 3
		.amdhsa_float_denorm_mode_16_64 3
		.amdhsa_dx10_clamp 1
		.amdhsa_ieee_mode 1
		.amdhsa_fp16_overflow 0
		.amdhsa_tg_split 0
		.amdhsa_exception_fp_ieee_invalid_op 0
		.amdhsa_exception_fp_denorm_src 0
		.amdhsa_exception_fp_ieee_div_zero 0
		.amdhsa_exception_fp_ieee_overflow 0
		.amdhsa_exception_fp_ieee_underflow 0
		.amdhsa_exception_fp_ieee_inexact 0
		.amdhsa_exception_int_div_zero 0
	.end_amdhsa_kernel
	.section	.text._ZN4vllm3moe17topkGatingSoftmaxILi4ELi4ELi4ELi16ELi32EiEEvPKfPKbPfiPT4_Piiii,"axG",@progbits,_ZN4vllm3moe17topkGatingSoftmaxILi4ELi4ELi4ELi16ELi32EiEEvPKfPKbPfiPT4_Piiii,comdat
.Lfunc_end5:
	.size	_ZN4vllm3moe17topkGatingSoftmaxILi4ELi4ELi4ELi16ELi32EiEEvPKfPKbPfiPT4_Piiii, .Lfunc_end5-_ZN4vllm3moe17topkGatingSoftmaxILi4ELi4ELi4ELi16ELi32EiEEvPKfPKbPfiPT4_Piiii
                                        ; -- End function
	.section	.AMDGPU.csdata,"",@progbits
; Kernel info:
; codeLenInByte = 956
; NumSgprs: 24
; NumVgprs: 20
; NumAgprs: 0
; TotalNumVgprs: 20
; ScratchSize: 0
; MemoryBound: 0
; FloatMode: 240
; IeeeMode: 1
; LDSByteSize: 2048 bytes/workgroup (compile time only)
; SGPRBlocks: 2
; VGPRBlocks: 2
; NumSGPRsForWavesPerEU: 24
; NumVGPRsForWavesPerEU: 20
; AccumOffset: 20
; Occupancy: 8
; WaveLimiterHint : 0
; COMPUTE_PGM_RSRC2:SCRATCH_EN: 0
; COMPUTE_PGM_RSRC2:USER_SGPR: 8
; COMPUTE_PGM_RSRC2:TRAP_HANDLER: 0
; COMPUTE_PGM_RSRC2:TGID_X_EN: 1
; COMPUTE_PGM_RSRC2:TGID_Y_EN: 0
; COMPUTE_PGM_RSRC2:TGID_Z_EN: 0
; COMPUTE_PGM_RSRC2:TIDIG_COMP_CNT: 2
; COMPUTE_PGM_RSRC3_GFX90A:ACCUM_OFFSET: 4
; COMPUTE_PGM_RSRC3_GFX90A:TG_SPLIT: 0
	.section	.text._ZN4vllm3moe17topkGatingSoftmaxILi4ELi8ELi4ELi16ELi64EiEEvPKfPKbPfiPT4_Piiii,"axG",@progbits,_ZN4vllm3moe17topkGatingSoftmaxILi4ELi8ELi4ELi16ELi64EiEEvPKfPKbPfiPT4_Piiii,comdat
	.protected	_ZN4vllm3moe17topkGatingSoftmaxILi4ELi8ELi4ELi16ELi64EiEEvPKfPKbPfiPT4_Piiii ; -- Begin function _ZN4vllm3moe17topkGatingSoftmaxILi4ELi8ELi4ELi16ELi64EiEEvPKfPKbPfiPT4_Piiii
	.globl	_ZN4vllm3moe17topkGatingSoftmaxILi4ELi8ELi4ELi16ELi64EiEEvPKfPKbPfiPT4_Piiii
	.p2align	8
	.type	_ZN4vllm3moe17topkGatingSoftmaxILi4ELi8ELi4ELi16ELi64EiEEvPKfPKbPfiPT4_Piiii,@function
_ZN4vllm3moe17topkGatingSoftmaxILi4ELi8ELi4ELi16ELi64EiEEvPKfPKbPfiPT4_Piiii: ; @_ZN4vllm3moe17topkGatingSoftmaxILi4ELi8ELi4ELi16ELi64EiEEvPKfPKbPfiPT4_Piiii
; %bb.0:
	s_load_dword s20, s[6:7], 0x18
	v_and_b32_e32 v3, 0x3ff, v0
	v_bfe_u32 v4, v0, 10, 10
	s_lshl_b32 s0, s8, 7
	v_lshlrev_b32_e32 v1, 5, v4
	v_lshrrev_b32_e32 v2, 1, v3
	v_add3_u32 v1, s0, v1, v2
	s_waitcnt lgkmcnt(0)
	v_cmp_gt_i32_e32 vcc, s20, v1
	s_and_saveexec_b64 s[0:1], vcc
	s_cbranch_execz .LBB6_15
; %bb.1:
	s_load_dwordx4 s[0:3], s[6:7], 0x0
	s_load_dwordx2 s[12:13], s[6:7], 0x10
	s_waitcnt lgkmcnt(0)
	s_cmp_eq_u64 s[2:3], 0
	s_cbranch_scc1 .LBB6_3
; %bb.2:
	v_ashrrev_i32_e32 v2, 31, v1
	v_mov_b32_e32 v5, s3
	v_add_co_u32_e32 v6, vcc, s2, v1
	v_addc_co_u32_e32 v7, vcc, v5, v2, vcc
	global_load_ubyte v2, v[6:7], off
	s_waitcnt vmcnt(0)
	v_and_b32_e32 v2, 1, v2
	v_cmp_eq_u32_e32 vcc, 1, v2
	s_xor_b64 s[2:3], vcc, -1
	s_orn2_b64 s[14:15], s[2:3], exec
	s_branch .LBB6_4
.LBB6_3:
	s_mov_b64 s[14:15], -1
.LBB6_4:
	v_lshlrev_b32_e32 v6, 3, v1
	v_ashrrev_i32_e32 v7, 31, v6
	v_lshlrev_b64 v[6:7], 2, v[6:7]
	v_mov_b32_e32 v2, s1
	v_add_co_u32_e32 v5, vcc, s0, v6
	v_addc_co_u32_e32 v7, vcc, v2, v7, vcc
	v_and_b32_e32 v2, 1, v3
	v_lshlrev_b32_e32 v6, 4, v2
	v_add_co_u32_e32 v6, vcc, v5, v6
	v_addc_co_u32_e32 v7, vcc, 0, v7, vcc
	global_load_dwordx4 v[6:9], v[6:7], off
	v_bfe_u32 v5, v0, 20, 10
	v_mbcnt_lo_u32_b32 v0, -1, 0
	v_mbcnt_hi_u32_b32 v0, -1, v0
	v_and_b32_e32 v11, 0x7e, v0
	v_xor_b32_e32 v10, 1, v0
	v_add_u32_e32 v11, 2, v11
	v_cmp_lt_i32_e32 vcc, v10, v11
	v_cndmask_b32_e32 v0, v0, v10, vcc
	v_lshlrev_b32_e32 v0, 2, v0
	s_mov_b32 s2, 0x3fb8aa3b
	s_mov_b32 s3, 0xc2ce8ed0
	s_load_dwordx4 s[8:11], s[6:7], 0x30
	s_load_dwordx2 s[0:1], s[4:5], 0x4
	s_mov_b32 s4, 0x42b17218
	v_mov_b32_e32 v12, 0x7f800000
	s_waitcnt lgkmcnt(0)
	s_mov_b32 s11, 0
	s_lshr_b32 s0, s0, 16
	s_mul_i32 s0, s0, s1
	v_mul_lo_u32 v3, s0, v3
	v_mad_u32_u24 v3, v4, s1, v3
	v_add_lshl_u32 v3, v3, v5, 4
	s_cmp_lt_i32 s8, 1
	s_waitcnt vmcnt(0)
	v_max_f32_e32 v10, v7, v7
	v_max_f32_e32 v11, v6, v6
	;; [unrolled: 1-line block ×3, first 2 shown]
	v_max3_f32 v10, v10, v8, v9
	ds_bpermute_b32 v11, v0, v10
	s_waitcnt lgkmcnt(0)
	v_max_f32_e32 v11, v11, v11
	v_max_f32_e32 v10, v10, v11
	v_pk_add_f32 v[8:9], v[8:9], v[10:11] op_sel_hi:[1,0] neg_lo:[0,1] neg_hi:[0,1]
	v_pk_add_f32 v[6:7], v[6:7], v[10:11] op_sel_hi:[1,0] neg_lo:[0,1] neg_hi:[0,1]
	v_mul_f32_e32 v10, 0x3fb8aa3b, v9
	v_mul_f32_e32 v11, 0x3fb8aa3b, v8
	v_fma_f32 v15, v9, s2, -v10
	v_rndne_f32_e32 v16, v10
	v_mul_f32_e32 v13, 0x3fb8aa3b, v7
	v_fma_f32 v17, v8, s2, -v11
	v_rndne_f32_e32 v18, v11
	v_fmac_f32_e32 v15, 0x32a5705f, v9
	v_sub_f32_e32 v10, v10, v16
	v_mul_f32_e32 v14, 0x3fb8aa3b, v6
	v_fma_f32 v19, v7, s2, -v13
	v_rndne_f32_e32 v20, v13
	v_fmac_f32_e32 v17, 0x32a5705f, v8
	v_sub_f32_e32 v11, v11, v18
	v_add_f32_e32 v10, v10, v15
	v_fma_f32 v21, v6, s2, -v14
	v_rndne_f32_e32 v22, v14
	v_cvt_i32_f32_e32 v16, v16
	v_fmac_f32_e32 v19, 0x32a5705f, v7
	v_sub_f32_e32 v13, v13, v20
	v_add_f32_e32 v11, v11, v17
	v_exp_f32_e32 v10, v10
	v_cvt_i32_f32_e32 v18, v18
	v_fmac_f32_e32 v21, 0x32a5705f, v6
	v_sub_f32_e32 v14, v14, v22
	v_add_f32_e32 v13, v13, v19
	v_exp_f32_e32 v11, v11
	v_cvt_i32_f32_e32 v20, v20
	v_add_f32_e32 v14, v14, v21
	v_exp_f32_e32 v13, v13
	v_cvt_i32_f32_e32 v22, v22
	v_exp_f32_e32 v14, v14
	v_ldexp_f32 v10, v10, v16
	v_cmp_ngt_f32_e32 vcc, s3, v9
	v_ldexp_f32 v11, v11, v18
	v_cndmask_b32_e32 v10, 0, v10, vcc
	v_cmp_ngt_f32_e32 vcc, s3, v8
	v_ldexp_f32 v13, v13, v20
	v_cndmask_b32_e32 v11, 0, v11, vcc
	;; [unrolled: 3-line block ×3, first 2 shown]
	v_cmp_ngt_f32_e32 vcc, s3, v6
	v_cndmask_b32_e32 v14, 0, v14, vcc
	v_cmp_nlt_f32_e32 vcc, s4, v9
	v_cndmask_b32_e32 v9, v12, v10, vcc
	v_cmp_nlt_f32_e32 vcc, s4, v8
	v_cndmask_b32_e32 v8, v12, v11, vcc
	v_cmp_nlt_f32_e32 vcc, s4, v7
	v_cndmask_b32_e32 v7, v12, v13, vcc
	v_cmp_nlt_f32_e32 vcc, s4, v6
	v_cndmask_b32_e32 v6, v12, v14, vcc
	v_add_f32_e32 v10, v6, v7
	v_add_f32_e32 v10, v10, v8
	;; [unrolled: 1-line block ×3, first 2 shown]
	ds_bpermute_b32 v11, v0, v10
	s_waitcnt lgkmcnt(0)
	v_add_f32_e32 v4, v10, v11
	v_div_scale_f32 v10, s[0:1], v4, v4, 1.0
	v_rcp_f32_e32 v11, v10
	v_div_scale_f32 v5, vcc, 1.0, v4, 1.0
	v_fma_f32 v12, -v10, v11, 1.0
	v_fmac_f32_e32 v11, v12, v11
	v_mul_f32_e32 v12, v5, v11
	v_fma_f32 v13, -v10, v12, v5
	v_fmac_f32_e32 v12, v13, v11
	v_fma_f32 v5, -v10, v12, v5
	v_div_fmas_f32 v5, v5, v11, v12
	v_div_fixup_f32 v10, v5, v4, 1.0
	v_pk_mul_f32 v[4:5], v[10:11], v[6:7] op_sel_hi:[0,1]
	v_pk_mul_f32 v[6:7], v[10:11], v[8:9] op_sel_hi:[0,1]
	ds_write_b128 v3, v[4:7]
	s_cbranch_scc1 .LBB6_15
; %bb.5:
	s_load_dwordx4 s[4:7], s[6:7], 0x20
	v_lshlrev_b32_e32 v4, 2, v2
	v_cmp_eq_u32_e32 vcc, 0, v2
	v_mul_lo_u32 v5, v1, s8
	v_mov_b32_e32 v6, 0xc61c4000
	s_branch .LBB6_7
.LBB6_6:                                ;   in Loop: Header=BB6_7 Depth=1
	s_or_b64 exec, exec, s[0:1]
	s_cmp_lg_u32 s8, s11
	v_add_u32_e32 v1, s20, v1
	s_cbranch_scc0 .LBB6_15
.LBB6_7:                                ; =>This Inner Loop Header: Depth=1
	ds_read_b128 v[8:11], v3
	s_waitcnt lgkmcnt(0)
	v_cmp_gt_f32_e64 s[0:1], v9, v8
	v_cndmask_b32_e64 v7, v8, v9, s[0:1]
	v_cndmask_b32_e64 v8, 0, 1, s[0:1]
	v_cmp_gt_f32_e64 s[0:1], v10, v7
	v_cndmask_b32_e64 v7, v7, v10, s[0:1]
	v_cndmask_b32_e64 v9, v8, 2, s[0:1]
	;; [unrolled: 3-line block ×3, first 2 shown]
	ds_bpermute_b32 v9, v0, v8
	v_or_b32_e32 v7, v4, v7
	ds_bpermute_b32 v10, v0, v7
	s_waitcnt lgkmcnt(1)
	v_cmp_lt_f32_e64 s[16:17], v8, v9
	v_cmp_nlt_f32_e64 s[0:1], v8, v9
	s_and_saveexec_b64 s[18:19], s[0:1]
	s_cbranch_execnz .LBB6_13
; %bb.8:                                ;   in Loop: Header=BB6_7 Depth=1
	s_or_b64 exec, exec, s[18:19]
	s_and_saveexec_b64 s[0:1], s[16:17]
	s_cbranch_execnz .LBB6_14
.LBB6_9:                                ;   in Loop: Header=BB6_7 Depth=1
	s_or_b64 exec, exec, s[0:1]
	s_and_saveexec_b64 s[16:17], vcc
	s_cbranch_execz .LBB6_11
.LBB6_10:                               ;   in Loop: Header=BB6_7 Depth=1
	s_waitcnt lgkmcnt(0)
	v_add_u32_e32 v10, s11, v5
	v_ashrrev_i32_e32 v11, 31, v10
	v_cmp_le_i32_e64 s[0:1], s9, v7
	v_cmp_gt_i32_e64 s[2:3], s10, v7
	v_lshlrev_b64 v[10:11], 2, v[10:11]
	s_and_b64 s[2:3], s[0:1], s[2:3]
	v_mov_b32_e32 v9, s13
	v_add_co_u32_e64 v12, s[0:1], s12, v10
	v_addc_co_u32_e64 v13, s[0:1], v9, v11, s[0:1]
	global_store_dword v[12:13], v8, off
	v_subrev_u32_e32 v8, s9, v7
	s_and_b64 s[0:1], s[14:15], s[2:3]
	v_cndmask_b32_e64 v12, 8, v8, s[0:1]
	v_mov_b32_e32 v9, s5
	v_add_co_u32_e64 v8, s[0:1], s4, v10
	v_addc_co_u32_e64 v9, s[0:1], v9, v11, s[0:1]
	global_store_dword v[8:9], v12, off
	v_mov_b32_e32 v9, s7
	v_add_co_u32_e64 v8, s[0:1], s6, v10
	v_addc_co_u32_e64 v9, s[0:1], v9, v11, s[0:1]
	global_store_dword v[8:9], v1, off
.LBB6_11:                               ;   in Loop: Header=BB6_7 Depth=1
	s_or_b64 exec, exec, s[16:17]
	v_ashrrev_i32_e32 v8, 31, v7
	v_lshrrev_b32_e32 v9, 30, v8
	s_waitcnt lgkmcnt(0)
	v_add_u32_e32 v10, v7, v9
	v_ashrrev_i32_e32 v9, 2, v10
	v_lshrrev_b32_e32 v10, 31, v10
	v_add_u32_e32 v10, v9, v10
	s_add_i32 s11, s11, 1
	v_and_b32_e32 v10, -2, v10
	s_cmp_lt_i32 s11, s8
	v_sub_u32_e32 v10, v9, v10
	s_cselect_b64 s[2:3], -1, 0
	v_cmp_eq_u32_e64 s[0:1], v2, v10
	s_and_b64 s[2:3], s[2:3], s[0:1]
	s_and_saveexec_b64 s[0:1], s[2:3]
	s_cbranch_execz .LBB6_6
; %bb.12:                               ;   in Loop: Header=BB6_7 Depth=1
	v_lshrrev_b32_e32 v8, 29, v8
	v_add_u32_e32 v8, v7, v8
	v_lshlrev_b32_e32 v9, 2, v9
	v_lshrrev_b32_e32 v8, 1, v8
	v_sub_u32_e32 v7, v7, v9
	v_and_b32_e32 v8, 0x7ffffffc, v8
	v_add_u32_e32 v7, v8, v7
	v_lshl_add_u32 v7, v7, 2, v3
	ds_write_b32 v7, v6
	s_branch .LBB6_6
.LBB6_13:                               ;   in Loop: Header=BB6_7 Depth=1
	v_cmp_eq_f32_e64 s[0:1], v8, v9
	s_waitcnt lgkmcnt(0)
	v_cmp_lt_i32_e64 s[2:3], v10, v7
	s_and_b64 s[0:1], s[0:1], s[2:3]
	s_andn2_b64 s[2:3], s[16:17], exec
	s_and_b64 s[0:1], s[0:1], exec
	s_or_b64 s[16:17], s[2:3], s[0:1]
	s_or_b64 exec, exec, s[18:19]
	s_and_saveexec_b64 s[0:1], s[16:17]
	s_cbranch_execz .LBB6_9
.LBB6_14:                               ;   in Loop: Header=BB6_7 Depth=1
	v_mov_b32_e32 v8, v9
	s_waitcnt lgkmcnt(0)
	v_mov_b32_e32 v7, v10
	s_or_b64 exec, exec, s[0:1]
	s_and_saveexec_b64 s[16:17], vcc
	s_cbranch_execnz .LBB6_10
	s_branch .LBB6_11
.LBB6_15:
	s_endpgm
	.section	.rodata,"a",@progbits
	.p2align	6, 0x0
	.amdhsa_kernel _ZN4vllm3moe17topkGatingSoftmaxILi4ELi8ELi4ELi16ELi64EiEEvPKfPKbPfiPT4_Piiii
		.amdhsa_group_segment_fixed_size 4096
		.amdhsa_private_segment_fixed_size 0
		.amdhsa_kernarg_size 60
		.amdhsa_user_sgpr_count 8
		.amdhsa_user_sgpr_private_segment_buffer 1
		.amdhsa_user_sgpr_dispatch_ptr 1
		.amdhsa_user_sgpr_queue_ptr 0
		.amdhsa_user_sgpr_kernarg_segment_ptr 1
		.amdhsa_user_sgpr_dispatch_id 0
		.amdhsa_user_sgpr_flat_scratch_init 0
		.amdhsa_user_sgpr_kernarg_preload_length 0
		.amdhsa_user_sgpr_kernarg_preload_offset 0
		.amdhsa_user_sgpr_private_segment_size 0
		.amdhsa_uses_dynamic_stack 0
		.amdhsa_system_sgpr_private_segment_wavefront_offset 0
		.amdhsa_system_sgpr_workgroup_id_x 1
		.amdhsa_system_sgpr_workgroup_id_y 0
		.amdhsa_system_sgpr_workgroup_id_z 0
		.amdhsa_system_sgpr_workgroup_info 0
		.amdhsa_system_vgpr_workitem_id 2
		.amdhsa_next_free_vgpr 23
		.amdhsa_next_free_sgpr 21
		.amdhsa_accum_offset 24
		.amdhsa_reserve_vcc 1
		.amdhsa_reserve_flat_scratch 0
		.amdhsa_float_round_mode_32 0
		.amdhsa_float_round_mode_16_64 0
		.amdhsa_float_denorm_mode_32 3
		.amdhsa_float_denorm_mode_16_64 3
		.amdhsa_dx10_clamp 1
		.amdhsa_ieee_mode 1
		.amdhsa_fp16_overflow 0
		.amdhsa_tg_split 0
		.amdhsa_exception_fp_ieee_invalid_op 0
		.amdhsa_exception_fp_denorm_src 0
		.amdhsa_exception_fp_ieee_div_zero 0
		.amdhsa_exception_fp_ieee_overflow 0
		.amdhsa_exception_fp_ieee_underflow 0
		.amdhsa_exception_fp_ieee_inexact 0
		.amdhsa_exception_int_div_zero 0
	.end_amdhsa_kernel
	.section	.text._ZN4vllm3moe17topkGatingSoftmaxILi4ELi8ELi4ELi16ELi64EiEEvPKfPKbPfiPT4_Piiii,"axG",@progbits,_ZN4vllm3moe17topkGatingSoftmaxILi4ELi8ELi4ELi16ELi64EiEEvPKfPKbPfiPT4_Piiii,comdat
.Lfunc_end6:
	.size	_ZN4vllm3moe17topkGatingSoftmaxILi4ELi8ELi4ELi16ELi64EiEEvPKfPKbPfiPT4_Piiii, .Lfunc_end6-_ZN4vllm3moe17topkGatingSoftmaxILi4ELi8ELi4ELi16ELi64EiEEvPKfPKbPfiPT4_Piiii
                                        ; -- End function
	.section	.AMDGPU.csdata,"",@progbits
; Kernel info:
; codeLenInByte = 1348
; NumSgprs: 25
; NumVgprs: 23
; NumAgprs: 0
; TotalNumVgprs: 23
; ScratchSize: 0
; MemoryBound: 0
; FloatMode: 240
; IeeeMode: 1
; LDSByteSize: 4096 bytes/workgroup (compile time only)
; SGPRBlocks: 3
; VGPRBlocks: 2
; NumSGPRsForWavesPerEU: 25
; NumVGPRsForWavesPerEU: 23
; AccumOffset: 24
; Occupancy: 8
; WaveLimiterHint : 0
; COMPUTE_PGM_RSRC2:SCRATCH_EN: 0
; COMPUTE_PGM_RSRC2:USER_SGPR: 8
; COMPUTE_PGM_RSRC2:TRAP_HANDLER: 0
; COMPUTE_PGM_RSRC2:TGID_X_EN: 1
; COMPUTE_PGM_RSRC2:TGID_Y_EN: 0
; COMPUTE_PGM_RSRC2:TGID_Z_EN: 0
; COMPUTE_PGM_RSRC2:TIDIG_COMP_CNT: 2
; COMPUTE_PGM_RSRC3_GFX90A:ACCUM_OFFSET: 5
; COMPUTE_PGM_RSRC3_GFX90A:TG_SPLIT: 0
	.section	.text._ZN4vllm3moe17topkGatingSoftmaxILi4ELi8ELi4ELi16ELi32EiEEvPKfPKbPfiPT4_Piiii,"axG",@progbits,_ZN4vllm3moe17topkGatingSoftmaxILi4ELi8ELi4ELi16ELi32EiEEvPKfPKbPfiPT4_Piiii,comdat
	.protected	_ZN4vllm3moe17topkGatingSoftmaxILi4ELi8ELi4ELi16ELi32EiEEvPKfPKbPfiPT4_Piiii ; -- Begin function _ZN4vllm3moe17topkGatingSoftmaxILi4ELi8ELi4ELi16ELi32EiEEvPKfPKbPfiPT4_Piiii
	.globl	_ZN4vllm3moe17topkGatingSoftmaxILi4ELi8ELi4ELi16ELi32EiEEvPKfPKbPfiPT4_Piiii
	.p2align	8
	.type	_ZN4vllm3moe17topkGatingSoftmaxILi4ELi8ELi4ELi16ELi32EiEEvPKfPKbPfiPT4_Piiii,@function
_ZN4vllm3moe17topkGatingSoftmaxILi4ELi8ELi4ELi16ELi32EiEEvPKfPKbPfiPT4_Piiii: ; @_ZN4vllm3moe17topkGatingSoftmaxILi4ELi8ELi4ELi16ELi32EiEEvPKfPKbPfiPT4_Piiii
; %bb.0:
	s_load_dword s20, s[6:7], 0x18
	v_and_b32_e32 v3, 0x3ff, v0
	v_bfe_u32 v4, v0, 10, 10
	s_lshl_b32 s0, s8, 6
	v_lshlrev_b32_e32 v1, 4, v4
	v_lshrrev_b32_e32 v2, 1, v3
	v_add3_u32 v1, s0, v1, v2
	s_waitcnt lgkmcnt(0)
	v_cmp_gt_i32_e32 vcc, s20, v1
	s_and_saveexec_b64 s[0:1], vcc
	s_cbranch_execz .LBB7_15
; %bb.1:
	s_load_dwordx4 s[0:3], s[6:7], 0x0
	s_load_dwordx2 s[12:13], s[6:7], 0x10
	s_waitcnt lgkmcnt(0)
	s_cmp_eq_u64 s[2:3], 0
	s_cbranch_scc1 .LBB7_3
; %bb.2:
	v_ashrrev_i32_e32 v2, 31, v1
	v_mov_b32_e32 v5, s3
	v_add_co_u32_e32 v6, vcc, s2, v1
	v_addc_co_u32_e32 v7, vcc, v5, v2, vcc
	global_load_ubyte v2, v[6:7], off
	s_waitcnt vmcnt(0)
	v_and_b32_e32 v2, 1, v2
	v_cmp_eq_u32_e32 vcc, 1, v2
	s_xor_b64 s[2:3], vcc, -1
	s_orn2_b64 s[14:15], s[2:3], exec
	s_branch .LBB7_4
.LBB7_3:
	s_mov_b64 s[14:15], -1
.LBB7_4:
	v_lshlrev_b32_e32 v6, 3, v1
	v_ashrrev_i32_e32 v7, 31, v6
	v_lshlrev_b64 v[6:7], 2, v[6:7]
	v_mov_b32_e32 v2, s1
	v_add_co_u32_e32 v5, vcc, s0, v6
	v_addc_co_u32_e32 v7, vcc, v2, v7, vcc
	v_and_b32_e32 v2, 1, v3
	v_lshlrev_b32_e32 v6, 4, v2
	v_add_co_u32_e32 v6, vcc, v5, v6
	v_addc_co_u32_e32 v7, vcc, 0, v7, vcc
	global_load_dwordx4 v[6:9], v[6:7], off
	v_bfe_u32 v5, v0, 20, 10
	v_mbcnt_lo_u32_b32 v0, -1, 0
	v_mbcnt_hi_u32_b32 v0, -1, v0
	v_and_b32_e32 v11, 0x7e, v0
	v_xor_b32_e32 v10, 1, v0
	v_add_u32_e32 v11, 2, v11
	v_cmp_lt_i32_e32 vcc, v10, v11
	v_cndmask_b32_e32 v0, v0, v10, vcc
	v_lshlrev_b32_e32 v0, 2, v0
	s_mov_b32 s2, 0x3fb8aa3b
	s_mov_b32 s3, 0xc2ce8ed0
	s_load_dwordx4 s[8:11], s[6:7], 0x30
	s_load_dwordx2 s[0:1], s[4:5], 0x4
	s_mov_b32 s4, 0x42b17218
	v_mov_b32_e32 v12, 0x7f800000
	s_waitcnt lgkmcnt(0)
	s_mov_b32 s11, 0
	s_lshr_b32 s0, s0, 16
	v_mul_u32_u24_e32 v4, s1, v4
	s_mul_i32 s0, s0, s1
	v_mad_u32_u24 v3, s0, v3, v4
	v_add_lshl_u32 v3, v3, v5, 4
	s_cmp_lt_i32 s8, 1
	s_waitcnt vmcnt(0)
	v_max_f32_e32 v10, v7, v7
	v_max_f32_e32 v11, v6, v6
	;; [unrolled: 1-line block ×3, first 2 shown]
	v_max3_f32 v10, v10, v8, v9
	ds_bpermute_b32 v11, v0, v10
	s_waitcnt lgkmcnt(0)
	v_max_f32_e32 v11, v11, v11
	v_max_f32_e32 v10, v10, v11
	v_pk_add_f32 v[8:9], v[8:9], v[10:11] op_sel_hi:[1,0] neg_lo:[0,1] neg_hi:[0,1]
	v_pk_add_f32 v[6:7], v[6:7], v[10:11] op_sel_hi:[1,0] neg_lo:[0,1] neg_hi:[0,1]
	v_mul_f32_e32 v10, 0x3fb8aa3b, v9
	v_mul_f32_e32 v11, 0x3fb8aa3b, v8
	v_fma_f32 v15, v9, s2, -v10
	v_rndne_f32_e32 v16, v10
	v_mul_f32_e32 v13, 0x3fb8aa3b, v7
	v_fma_f32 v17, v8, s2, -v11
	v_rndne_f32_e32 v18, v11
	v_fmac_f32_e32 v15, 0x32a5705f, v9
	v_sub_f32_e32 v10, v10, v16
	v_mul_f32_e32 v14, 0x3fb8aa3b, v6
	v_fma_f32 v19, v7, s2, -v13
	v_rndne_f32_e32 v20, v13
	v_fmac_f32_e32 v17, 0x32a5705f, v8
	v_sub_f32_e32 v11, v11, v18
	v_add_f32_e32 v10, v10, v15
	v_fma_f32 v21, v6, s2, -v14
	v_rndne_f32_e32 v22, v14
	v_cvt_i32_f32_e32 v16, v16
	v_fmac_f32_e32 v19, 0x32a5705f, v7
	v_sub_f32_e32 v13, v13, v20
	v_add_f32_e32 v11, v11, v17
	v_exp_f32_e32 v10, v10
	v_cvt_i32_f32_e32 v18, v18
	v_fmac_f32_e32 v21, 0x32a5705f, v6
	v_sub_f32_e32 v14, v14, v22
	v_add_f32_e32 v13, v13, v19
	v_exp_f32_e32 v11, v11
	v_cvt_i32_f32_e32 v20, v20
	v_add_f32_e32 v14, v14, v21
	v_exp_f32_e32 v13, v13
	v_cvt_i32_f32_e32 v22, v22
	v_exp_f32_e32 v14, v14
	v_ldexp_f32 v10, v10, v16
	v_cmp_ngt_f32_e32 vcc, s3, v9
	v_ldexp_f32 v11, v11, v18
	v_cndmask_b32_e32 v10, 0, v10, vcc
	v_cmp_ngt_f32_e32 vcc, s3, v8
	v_ldexp_f32 v13, v13, v20
	v_cndmask_b32_e32 v11, 0, v11, vcc
	;; [unrolled: 3-line block ×3, first 2 shown]
	v_cmp_ngt_f32_e32 vcc, s3, v6
	v_cndmask_b32_e32 v14, 0, v14, vcc
	v_cmp_nlt_f32_e32 vcc, s4, v9
	v_cndmask_b32_e32 v9, v12, v10, vcc
	v_cmp_nlt_f32_e32 vcc, s4, v8
	;; [unrolled: 2-line block ×4, first 2 shown]
	v_cndmask_b32_e32 v6, v12, v14, vcc
	v_add_f32_e32 v10, v6, v7
	v_add_f32_e32 v10, v10, v8
	;; [unrolled: 1-line block ×3, first 2 shown]
	ds_bpermute_b32 v11, v0, v10
	s_waitcnt lgkmcnt(0)
	v_add_f32_e32 v4, v10, v11
	v_div_scale_f32 v10, s[0:1], v4, v4, 1.0
	v_rcp_f32_e32 v11, v10
	v_div_scale_f32 v5, vcc, 1.0, v4, 1.0
	v_fma_f32 v12, -v10, v11, 1.0
	v_fmac_f32_e32 v11, v12, v11
	v_mul_f32_e32 v12, v5, v11
	v_fma_f32 v13, -v10, v12, v5
	v_fmac_f32_e32 v12, v13, v11
	v_fma_f32 v5, -v10, v12, v5
	v_div_fmas_f32 v5, v5, v11, v12
	v_div_fixup_f32 v10, v5, v4, 1.0
	v_pk_mul_f32 v[4:5], v[10:11], v[6:7] op_sel_hi:[0,1]
	v_pk_mul_f32 v[6:7], v[10:11], v[8:9] op_sel_hi:[0,1]
	ds_write_b128 v3, v[4:7]
	s_cbranch_scc1 .LBB7_15
; %bb.5:
	s_load_dwordx4 s[4:7], s[6:7], 0x20
	v_lshlrev_b32_e32 v4, 2, v2
	v_cmp_eq_u32_e32 vcc, 0, v2
	v_mul_lo_u32 v5, v1, s8
	v_mov_b32_e32 v6, 0xc61c4000
	s_branch .LBB7_7
.LBB7_6:                                ;   in Loop: Header=BB7_7 Depth=1
	s_or_b64 exec, exec, s[0:1]
	s_cmp_lg_u32 s8, s11
	v_add_u32_e32 v1, s20, v1
	s_cbranch_scc0 .LBB7_15
.LBB7_7:                                ; =>This Inner Loop Header: Depth=1
	ds_read_b128 v[8:11], v3
	s_waitcnt lgkmcnt(0)
	v_cmp_gt_f32_e64 s[0:1], v9, v8
	v_cndmask_b32_e64 v7, v8, v9, s[0:1]
	v_cndmask_b32_e64 v8, 0, 1, s[0:1]
	v_cmp_gt_f32_e64 s[0:1], v10, v7
	v_cndmask_b32_e64 v7, v7, v10, s[0:1]
	v_cndmask_b32_e64 v9, v8, 2, s[0:1]
	;; [unrolled: 3-line block ×3, first 2 shown]
	ds_bpermute_b32 v9, v0, v8
	v_or_b32_e32 v7, v4, v7
	ds_bpermute_b32 v10, v0, v7
	s_waitcnt lgkmcnt(1)
	v_cmp_lt_f32_e64 s[16:17], v8, v9
	v_cmp_nlt_f32_e64 s[0:1], v8, v9
	s_and_saveexec_b64 s[18:19], s[0:1]
	s_cbranch_execnz .LBB7_13
; %bb.8:                                ;   in Loop: Header=BB7_7 Depth=1
	s_or_b64 exec, exec, s[18:19]
	s_and_saveexec_b64 s[0:1], s[16:17]
	s_cbranch_execnz .LBB7_14
.LBB7_9:                                ;   in Loop: Header=BB7_7 Depth=1
	s_or_b64 exec, exec, s[0:1]
	s_and_saveexec_b64 s[16:17], vcc
	s_cbranch_execz .LBB7_11
.LBB7_10:                               ;   in Loop: Header=BB7_7 Depth=1
	s_waitcnt lgkmcnt(0)
	v_add_u32_e32 v10, s11, v5
	v_ashrrev_i32_e32 v11, 31, v10
	v_cmp_le_i32_e64 s[0:1], s9, v7
	v_cmp_gt_i32_e64 s[2:3], s10, v7
	v_lshlrev_b64 v[10:11], 2, v[10:11]
	s_and_b64 s[2:3], s[0:1], s[2:3]
	v_mov_b32_e32 v9, s13
	v_add_co_u32_e64 v12, s[0:1], s12, v10
	v_addc_co_u32_e64 v13, s[0:1], v9, v11, s[0:1]
	global_store_dword v[12:13], v8, off
	v_subrev_u32_e32 v8, s9, v7
	s_and_b64 s[0:1], s[14:15], s[2:3]
	v_cndmask_b32_e64 v12, 8, v8, s[0:1]
	v_mov_b32_e32 v9, s5
	v_add_co_u32_e64 v8, s[0:1], s4, v10
	v_addc_co_u32_e64 v9, s[0:1], v9, v11, s[0:1]
	global_store_dword v[8:9], v12, off
	v_mov_b32_e32 v9, s7
	v_add_co_u32_e64 v8, s[0:1], s6, v10
	v_addc_co_u32_e64 v9, s[0:1], v9, v11, s[0:1]
	global_store_dword v[8:9], v1, off
.LBB7_11:                               ;   in Loop: Header=BB7_7 Depth=1
	s_or_b64 exec, exec, s[16:17]
	v_ashrrev_i32_e32 v8, 31, v7
	v_lshrrev_b32_e32 v9, 30, v8
	s_waitcnt lgkmcnt(0)
	v_add_u32_e32 v10, v7, v9
	v_ashrrev_i32_e32 v9, 2, v10
	v_lshrrev_b32_e32 v10, 31, v10
	v_add_u32_e32 v10, v9, v10
	s_add_i32 s11, s11, 1
	v_and_b32_e32 v10, -2, v10
	s_cmp_lt_i32 s11, s8
	v_sub_u32_e32 v10, v9, v10
	s_cselect_b64 s[2:3], -1, 0
	v_cmp_eq_u32_e64 s[0:1], v2, v10
	s_and_b64 s[2:3], s[2:3], s[0:1]
	s_and_saveexec_b64 s[0:1], s[2:3]
	s_cbranch_execz .LBB7_6
; %bb.12:                               ;   in Loop: Header=BB7_7 Depth=1
	v_lshrrev_b32_e32 v8, 29, v8
	v_add_u32_e32 v8, v7, v8
	v_lshlrev_b32_e32 v9, 2, v9
	v_lshrrev_b32_e32 v8, 1, v8
	v_sub_u32_e32 v7, v7, v9
	v_and_b32_e32 v8, 0x7ffffffc, v8
	v_add_u32_e32 v7, v8, v7
	v_lshl_add_u32 v7, v7, 2, v3
	ds_write_b32 v7, v6
	s_branch .LBB7_6
.LBB7_13:                               ;   in Loop: Header=BB7_7 Depth=1
	v_cmp_eq_f32_e64 s[0:1], v8, v9
	s_waitcnt lgkmcnt(0)
	v_cmp_lt_i32_e64 s[2:3], v10, v7
	s_and_b64 s[0:1], s[0:1], s[2:3]
	s_andn2_b64 s[2:3], s[16:17], exec
	s_and_b64 s[0:1], s[0:1], exec
	s_or_b64 s[16:17], s[2:3], s[0:1]
	s_or_b64 exec, exec, s[18:19]
	s_and_saveexec_b64 s[0:1], s[16:17]
	s_cbranch_execz .LBB7_9
.LBB7_14:                               ;   in Loop: Header=BB7_7 Depth=1
	v_mov_b32_e32 v8, v9
	s_waitcnt lgkmcnt(0)
	v_mov_b32_e32 v7, v10
	s_or_b64 exec, exec, s[0:1]
	s_and_saveexec_b64 s[16:17], vcc
	s_cbranch_execnz .LBB7_10
	s_branch .LBB7_11
.LBB7_15:
	s_endpgm
	.section	.rodata,"a",@progbits
	.p2align	6, 0x0
	.amdhsa_kernel _ZN4vllm3moe17topkGatingSoftmaxILi4ELi8ELi4ELi16ELi32EiEEvPKfPKbPfiPT4_Piiii
		.amdhsa_group_segment_fixed_size 2048
		.amdhsa_private_segment_fixed_size 0
		.amdhsa_kernarg_size 60
		.amdhsa_user_sgpr_count 8
		.amdhsa_user_sgpr_private_segment_buffer 1
		.amdhsa_user_sgpr_dispatch_ptr 1
		.amdhsa_user_sgpr_queue_ptr 0
		.amdhsa_user_sgpr_kernarg_segment_ptr 1
		.amdhsa_user_sgpr_dispatch_id 0
		.amdhsa_user_sgpr_flat_scratch_init 0
		.amdhsa_user_sgpr_kernarg_preload_length 0
		.amdhsa_user_sgpr_kernarg_preload_offset 0
		.amdhsa_user_sgpr_private_segment_size 0
		.amdhsa_uses_dynamic_stack 0
		.amdhsa_system_sgpr_private_segment_wavefront_offset 0
		.amdhsa_system_sgpr_workgroup_id_x 1
		.amdhsa_system_sgpr_workgroup_id_y 0
		.amdhsa_system_sgpr_workgroup_id_z 0
		.amdhsa_system_sgpr_workgroup_info 0
		.amdhsa_system_vgpr_workitem_id 2
		.amdhsa_next_free_vgpr 23
		.amdhsa_next_free_sgpr 21
		.amdhsa_accum_offset 24
		.amdhsa_reserve_vcc 1
		.amdhsa_reserve_flat_scratch 0
		.amdhsa_float_round_mode_32 0
		.amdhsa_float_round_mode_16_64 0
		.amdhsa_float_denorm_mode_32 3
		.amdhsa_float_denorm_mode_16_64 3
		.amdhsa_dx10_clamp 1
		.amdhsa_ieee_mode 1
		.amdhsa_fp16_overflow 0
		.amdhsa_tg_split 0
		.amdhsa_exception_fp_ieee_invalid_op 0
		.amdhsa_exception_fp_denorm_src 0
		.amdhsa_exception_fp_ieee_div_zero 0
		.amdhsa_exception_fp_ieee_overflow 0
		.amdhsa_exception_fp_ieee_underflow 0
		.amdhsa_exception_fp_ieee_inexact 0
		.amdhsa_exception_int_div_zero 0
	.end_amdhsa_kernel
	.section	.text._ZN4vllm3moe17topkGatingSoftmaxILi4ELi8ELi4ELi16ELi32EiEEvPKfPKbPfiPT4_Piiii,"axG",@progbits,_ZN4vllm3moe17topkGatingSoftmaxILi4ELi8ELi4ELi16ELi32EiEEvPKfPKbPfiPT4_Piiii,comdat
.Lfunc_end7:
	.size	_ZN4vllm3moe17topkGatingSoftmaxILi4ELi8ELi4ELi16ELi32EiEEvPKfPKbPfiPT4_Piiii, .Lfunc_end7-_ZN4vllm3moe17topkGatingSoftmaxILi4ELi8ELi4ELi16ELi32EiEEvPKfPKbPfiPT4_Piiii
                                        ; -- End function
	.section	.AMDGPU.csdata,"",@progbits
; Kernel info:
; codeLenInByte = 1344
; NumSgprs: 25
; NumVgprs: 23
; NumAgprs: 0
; TotalNumVgprs: 23
; ScratchSize: 0
; MemoryBound: 0
; FloatMode: 240
; IeeeMode: 1
; LDSByteSize: 2048 bytes/workgroup (compile time only)
; SGPRBlocks: 3
; VGPRBlocks: 2
; NumSGPRsForWavesPerEU: 25
; NumVGPRsForWavesPerEU: 23
; AccumOffset: 24
; Occupancy: 8
; WaveLimiterHint : 0
; COMPUTE_PGM_RSRC2:SCRATCH_EN: 0
; COMPUTE_PGM_RSRC2:USER_SGPR: 8
; COMPUTE_PGM_RSRC2:TRAP_HANDLER: 0
; COMPUTE_PGM_RSRC2:TGID_X_EN: 1
; COMPUTE_PGM_RSRC2:TGID_Y_EN: 0
; COMPUTE_PGM_RSRC2:TGID_Z_EN: 0
; COMPUTE_PGM_RSRC2:TIDIG_COMP_CNT: 2
; COMPUTE_PGM_RSRC3_GFX90A:ACCUM_OFFSET: 5
; COMPUTE_PGM_RSRC3_GFX90A:TG_SPLIT: 0
	.section	.text._ZN4vllm3moe17topkGatingSoftmaxILi4ELi16ELi4ELi16ELi64EiEEvPKfPKbPfiPT4_Piiii,"axG",@progbits,_ZN4vllm3moe17topkGatingSoftmaxILi4ELi16ELi4ELi16ELi64EiEEvPKfPKbPfiPT4_Piiii,comdat
	.protected	_ZN4vllm3moe17topkGatingSoftmaxILi4ELi16ELi4ELi16ELi64EiEEvPKfPKbPfiPT4_Piiii ; -- Begin function _ZN4vllm3moe17topkGatingSoftmaxILi4ELi16ELi4ELi16ELi64EiEEvPKfPKbPfiPT4_Piiii
	.globl	_ZN4vllm3moe17topkGatingSoftmaxILi4ELi16ELi4ELi16ELi64EiEEvPKfPKbPfiPT4_Piiii
	.p2align	8
	.type	_ZN4vllm3moe17topkGatingSoftmaxILi4ELi16ELi4ELi16ELi64EiEEvPKfPKbPfiPT4_Piiii,@function
_ZN4vllm3moe17topkGatingSoftmaxILi4ELi16ELi4ELi16ELi64EiEEvPKfPKbPfiPT4_Piiii: ; @_ZN4vllm3moe17topkGatingSoftmaxILi4ELi16ELi4ELi16ELi64EiEEvPKfPKbPfiPT4_Piiii
; %bb.0:
	s_load_dword s20, s[6:7], 0x18
	v_and_b32_e32 v5, 0x3ff, v0
	v_bfe_u32 v6, v0, 10, 10
	s_lshl_b32 s0, s8, 6
	v_lshlrev_b32_e32 v1, 4, v6
	v_lshrrev_b32_e32 v2, 2, v5
	v_add3_u32 v1, s0, v1, v2
	s_waitcnt lgkmcnt(0)
	v_cmp_gt_i32_e32 vcc, s20, v1
	s_and_saveexec_b64 s[0:1], vcc
	s_cbranch_execz .LBB8_19
; %bb.1:
	s_load_dwordx4 s[0:3], s[6:7], 0x0
	s_load_dwordx2 s[12:13], s[6:7], 0x10
	s_waitcnt lgkmcnt(0)
	s_cmp_eq_u64 s[2:3], 0
	s_cbranch_scc1 .LBB8_3
; %bb.2:
	v_ashrrev_i32_e32 v3, 31, v1
	v_mov_b32_e32 v4, s3
	v_add_co_u32_e32 v2, vcc, s2, v1
	v_addc_co_u32_e32 v3, vcc, v4, v3, vcc
	global_load_ubyte v2, v[2:3], off
	s_waitcnt vmcnt(0)
	v_and_b32_e32 v2, 1, v2
	v_cmp_eq_u32_e32 vcc, 1, v2
	s_xor_b64 s[2:3], vcc, -1
	s_orn2_b64 s[14:15], s[2:3], exec
	s_branch .LBB8_4
.LBB8_3:
	s_mov_b64 s[14:15], -1
.LBB8_4:
	v_lshlrev_b32_e32 v2, 4, v1
	v_ashrrev_i32_e32 v3, 31, v2
	v_lshlrev_b64 v[2:3], 2, v[2:3]
	v_mov_b32_e32 v4, s1
	v_add_co_u32_e32 v7, vcc, s0, v2
	v_and_b32_e32 v2, 3, v5
	v_addc_co_u32_e32 v3, vcc, v4, v3, vcc
	v_lshlrev_b32_e32 v4, 4, v2
	v_add_co_u32_e32 v8, vcc, v7, v4
	v_addc_co_u32_e32 v9, vcc, 0, v3, vcc
	global_load_dwordx4 v[8:11], v[8:9], off
	v_mbcnt_lo_u32_b32 v3, -1, 0
	v_mbcnt_hi_u32_b32 v4, -1, v3
	v_and_b32_e32 v3, 0x7c, v4
	v_xor_b32_e32 v7, 2, v4
	v_add_u32_e32 v12, 4, v3
	v_cmp_lt_i32_e32 vcc, v7, v12
	v_cndmask_b32_e32 v3, v4, v7, vcc
	v_lshlrev_b32_e32 v3, 2, v3
	v_xor_b32_e32 v14, 1, v4
	v_cmp_lt_i32_e32 vcc, v14, v12
	v_cndmask_b32_e32 v4, v4, v14, vcc
	v_lshlrev_b32_e32 v4, 2, v4
	s_mov_b32 s0, 0x3fb8aa3b
	s_mov_b32 s1, 0xc2ce8ed0
	;; [unrolled: 1-line block ×3, first 2 shown]
	v_bfe_u32 v0, v0, 20, 10
	s_waitcnt vmcnt(0)
	v_max_f32_e32 v7, v9, v9
	v_max_f32_e32 v13, v8, v8
	;; [unrolled: 1-line block ×3, first 2 shown]
	v_max3_f32 v7, v7, v10, v11
	ds_bpermute_b32 v13, v3, v7
	s_waitcnt lgkmcnt(0)
	v_max_f32_e32 v12, v13, v13
	v_max_f32_e32 v7, v7, v12
	ds_bpermute_b32 v12, v4, v7
	v_mov_b32_e32 v13, 0x7f800000
	s_waitcnt lgkmcnt(0)
	v_max_f32_e32 v12, v12, v12
	v_max_f32_e32 v12, v7, v12
	v_pk_add_f32 v[10:11], v[10:11], v[12:13] op_sel_hi:[1,0] neg_lo:[0,1] neg_hi:[0,1]
	v_mul_f32_e32 v7, 0x3fb8aa3b, v11
	v_pk_add_f32 v[8:9], v[8:9], v[12:13] op_sel_hi:[1,0] neg_lo:[0,1] neg_hi:[0,1]
	v_mul_f32_e32 v12, 0x3fb8aa3b, v10
	v_fma_f32 v16, v11, s0, -v7
	v_rndne_f32_e32 v17, v7
	v_mul_f32_e32 v14, 0x3fb8aa3b, v9
	v_fma_f32 v18, v10, s0, -v12
	v_rndne_f32_e32 v19, v12
	v_fmac_f32_e32 v16, 0x32a5705f, v11
	v_sub_f32_e32 v7, v7, v17
	v_mul_f32_e32 v15, 0x3fb8aa3b, v8
	v_fma_f32 v20, v9, s0, -v14
	v_rndne_f32_e32 v21, v14
	v_fmac_f32_e32 v18, 0x32a5705f, v10
	v_sub_f32_e32 v12, v12, v19
	v_add_f32_e32 v7, v7, v16
	v_fma_f32 v22, v8, s0, -v15
	v_rndne_f32_e32 v23, v15
	v_cvt_i32_f32_e32 v17, v17
	v_fmac_f32_e32 v20, 0x32a5705f, v9
	v_sub_f32_e32 v14, v14, v21
	v_add_f32_e32 v12, v12, v18
	v_exp_f32_e32 v7, v7
	v_cvt_i32_f32_e32 v19, v19
	v_fmac_f32_e32 v22, 0x32a5705f, v8
	v_sub_f32_e32 v15, v15, v23
	v_add_f32_e32 v14, v14, v20
	v_exp_f32_e32 v12, v12
	v_cvt_i32_f32_e32 v21, v21
	v_add_f32_e32 v15, v15, v22
	v_exp_f32_e32 v14, v14
	v_cvt_i32_f32_e32 v23, v23
	v_exp_f32_e32 v15, v15
	v_ldexp_f32 v7, v7, v17
	v_cmp_ngt_f32_e32 vcc, s1, v11
	v_ldexp_f32 v12, v12, v19
	v_cndmask_b32_e32 v7, 0, v7, vcc
	v_cmp_ngt_f32_e32 vcc, s1, v10
	v_ldexp_f32 v14, v14, v21
	v_cndmask_b32_e32 v12, 0, v12, vcc
	;; [unrolled: 3-line block ×3, first 2 shown]
	v_cmp_ngt_f32_e32 vcc, s1, v8
	v_cndmask_b32_e32 v15, 0, v15, vcc
	v_cmp_nlt_f32_e32 vcc, s2, v11
	v_cndmask_b32_e32 v11, v13, v7, vcc
	v_cmp_nlt_f32_e32 vcc, s2, v10
	;; [unrolled: 2-line block ×4, first 2 shown]
	v_cndmask_b32_e32 v8, v13, v15, vcc
	v_add_f32_e32 v7, v8, v9
	v_add_f32_e32 v7, v7, v10
	v_add_f32_e32 v7, v7, v11
	ds_bpermute_b32 v12, v3, v7
	s_load_dwordx4 s[8:11], s[6:7], 0x30
	s_load_dwordx2 s[0:1], s[4:5], 0x4
	s_waitcnt lgkmcnt(0)
	s_mov_b32 s11, 0
	v_add_f32_e32 v7, v7, v12
	ds_bpermute_b32 v12, v4, v7
	s_lshr_b32 s0, s0, 16
	s_mul_i32 s0, s0, s1
	v_mul_lo_u32 v5, s0, v5
	v_mad_u32_u24 v5, v6, s1, v5
	s_waitcnt lgkmcnt(0)
	v_add_f32_e32 v6, v7, v12
	v_div_scale_f32 v7, s[0:1], v6, v6, 1.0
	v_rcp_f32_e32 v12, v7
	v_add_lshl_u32 v0, v5, v0, 4
	v_div_scale_f32 v5, vcc, 1.0, v6, 1.0
	v_fma_f32 v13, -v7, v12, 1.0
	v_fmac_f32_e32 v12, v13, v12
	v_mul_f32_e32 v13, v5, v12
	v_fma_f32 v14, -v7, v13, v5
	v_fmac_f32_e32 v13, v14, v12
	v_fma_f32 v5, -v7, v13, v5
	v_div_fmas_f32 v5, v5, v12, v13
	v_div_fixup_f32 v12, v5, v6, 1.0
	v_pk_mul_f32 v[6:7], v[12:13], v[8:9] op_sel_hi:[0,1]
	v_pk_mul_f32 v[8:9], v[12:13], v[10:11] op_sel_hi:[0,1]
	s_cmp_lt_i32 s8, 1
	ds_write_b128 v0, v[6:9]
	s_cbranch_scc1 .LBB8_19
; %bb.5:
	s_load_dwordx4 s[4:7], s[6:7], 0x20
	v_lshlrev_b32_e32 v5, 2, v2
	v_cmp_eq_u32_e32 vcc, 0, v2
	v_mul_lo_u32 v6, v1, s8
	v_mov_b32_e32 v7, 0xc61c4000
	s_branch .LBB8_7
.LBB8_6:                                ;   in Loop: Header=BB8_7 Depth=1
	s_or_b64 exec, exec, s[0:1]
	s_cmp_lg_u32 s8, s11
	v_add_u32_e32 v1, s20, v1
	s_cbranch_scc0 .LBB8_19
.LBB8_7:                                ; =>This Inner Loop Header: Depth=1
	ds_read_b128 v[8:11], v0
	s_waitcnt lgkmcnt(0)
	v_cmp_gt_f32_e64 s[0:1], v9, v8
	v_cndmask_b32_e64 v8, v8, v9, s[0:1]
	v_cndmask_b32_e64 v9, 0, 1, s[0:1]
	v_cmp_gt_f32_e64 s[0:1], v10, v8
	v_cndmask_b32_e64 v8, v8, v10, s[0:1]
	v_cndmask_b32_e64 v10, v9, 2, s[0:1]
	;; [unrolled: 3-line block ×3, first 2 shown]
	ds_bpermute_b32 v10, v3, v9
	v_or_b32_e32 v8, v5, v8
	ds_bpermute_b32 v11, v3, v8
	s_waitcnt lgkmcnt(1)
	v_cmp_lt_f32_e64 s[16:17], v9, v10
	v_cmp_nlt_f32_e64 s[0:1], v9, v10
	s_and_saveexec_b64 s[18:19], s[0:1]
	s_cbranch_execz .LBB8_9
; %bb.8:                                ;   in Loop: Header=BB8_7 Depth=1
	v_cmp_eq_f32_e64 s[0:1], v9, v10
	s_waitcnt lgkmcnt(0)
	v_cmp_lt_i32_e64 s[2:3], v11, v8
	s_and_b64 s[0:1], s[0:1], s[2:3]
	s_andn2_b64 s[2:3], s[16:17], exec
	s_and_b64 s[0:1], s[0:1], exec
	s_or_b64 s[16:17], s[2:3], s[0:1]
.LBB8_9:                                ;   in Loop: Header=BB8_7 Depth=1
	s_or_b64 exec, exec, s[18:19]
	s_and_saveexec_b64 s[0:1], s[16:17]
	s_cbranch_execz .LBB8_11
; %bb.10:                               ;   in Loop: Header=BB8_7 Depth=1
	v_mov_b32_e32 v9, v10
	s_waitcnt lgkmcnt(0)
	v_mov_b32_e32 v8, v11
.LBB8_11:                               ;   in Loop: Header=BB8_7 Depth=1
	s_or_b64 exec, exec, s[0:1]
	ds_bpermute_b32 v10, v4, v9
	s_waitcnt lgkmcnt(1)
	ds_bpermute_b32 v11, v4, v8
	s_waitcnt lgkmcnt(1)
	v_cmp_lt_f32_e64 s[16:17], v9, v10
	v_cmp_nlt_f32_e64 s[0:1], v9, v10
	s_and_saveexec_b64 s[18:19], s[0:1]
	s_cbranch_execnz .LBB8_17
; %bb.12:                               ;   in Loop: Header=BB8_7 Depth=1
	s_or_b64 exec, exec, s[18:19]
	s_and_saveexec_b64 s[0:1], s[16:17]
	s_cbranch_execnz .LBB8_18
.LBB8_13:                               ;   in Loop: Header=BB8_7 Depth=1
	s_or_b64 exec, exec, s[0:1]
	s_and_saveexec_b64 s[16:17], vcc
	s_cbranch_execz .LBB8_15
.LBB8_14:                               ;   in Loop: Header=BB8_7 Depth=1
	v_add_u32_e32 v10, s11, v6
	s_waitcnt lgkmcnt(0)
	v_ashrrev_i32_e32 v11, 31, v10
	v_cmp_le_i32_e64 s[0:1], s9, v8
	v_cmp_gt_i32_e64 s[2:3], s10, v8
	v_lshlrev_b64 v[10:11], 2, v[10:11]
	s_and_b64 s[2:3], s[0:1], s[2:3]
	v_mov_b32_e32 v13, s13
	v_add_co_u32_e64 v12, s[0:1], s12, v10
	v_addc_co_u32_e64 v13, s[0:1], v13, v11, s[0:1]
	global_store_dword v[12:13], v9, off
	v_subrev_u32_e32 v9, s9, v8
	s_and_b64 s[0:1], s[14:15], s[2:3]
	v_cndmask_b32_e64 v9, 16, v9, s[0:1]
	v_mov_b32_e32 v13, s5
	v_add_co_u32_e64 v12, s[0:1], s4, v10
	v_addc_co_u32_e64 v13, s[0:1], v13, v11, s[0:1]
	global_store_dword v[12:13], v9, off
	v_mov_b32_e32 v9, s7
	v_add_co_u32_e64 v10, s[0:1], s6, v10
	v_addc_co_u32_e64 v11, s[0:1], v9, v11, s[0:1]
	global_store_dword v[10:11], v1, off
.LBB8_15:                               ;   in Loop: Header=BB8_7 Depth=1
	s_or_b64 exec, exec, s[16:17]
	v_ashrrev_i32_e32 v9, 31, v8
	v_lshrrev_b32_e32 v10, 30, v9
	v_add_u32_e32 v10, v8, v10
	v_ashrrev_i32_e32 v10, 2, v10
	s_waitcnt lgkmcnt(0)
	v_lshrrev_b32_e32 v11, 30, v10
	v_add_u32_e32 v11, v10, v11
	s_add_i32 s11, s11, 1
	v_and_b32_e32 v11, -4, v11
	s_cmp_lt_i32 s11, s8
	v_sub_u32_e32 v11, v10, v11
	s_cselect_b64 s[2:3], -1, 0
	v_cmp_eq_u32_e64 s[0:1], v2, v11
	s_and_b64 s[2:3], s[2:3], s[0:1]
	s_and_saveexec_b64 s[0:1], s[2:3]
	s_cbranch_execz .LBB8_6
; %bb.16:                               ;   in Loop: Header=BB8_7 Depth=1
	v_lshrrev_b32_e32 v9, 28, v9
	v_add_u32_e32 v9, v8, v9
	v_lshlrev_b32_e32 v10, 2, v10
	v_lshrrev_b32_e32 v9, 2, v9
	v_sub_u32_e32 v8, v8, v10
	v_and_b32_e32 v9, 0x3ffffffc, v9
	v_add_u32_e32 v8, v9, v8
	v_lshl_add_u32 v8, v8, 2, v0
	ds_write_b32 v8, v7
	s_branch .LBB8_6
.LBB8_17:                               ;   in Loop: Header=BB8_7 Depth=1
	v_cmp_eq_f32_e64 s[0:1], v9, v10
	s_waitcnt lgkmcnt(0)
	v_cmp_lt_i32_e64 s[2:3], v11, v8
	s_and_b64 s[0:1], s[0:1], s[2:3]
	s_andn2_b64 s[2:3], s[16:17], exec
	s_and_b64 s[0:1], s[0:1], exec
	s_or_b64 s[16:17], s[2:3], s[0:1]
	s_or_b64 exec, exec, s[18:19]
	s_and_saveexec_b64 s[0:1], s[16:17]
	s_cbranch_execz .LBB8_13
.LBB8_18:                               ;   in Loop: Header=BB8_7 Depth=1
	v_mov_b32_e32 v9, v10
	s_waitcnt lgkmcnt(0)
	v_mov_b32_e32 v8, v11
	s_or_b64 exec, exec, s[0:1]
	s_and_saveexec_b64 s[16:17], vcc
	s_cbranch_execnz .LBB8_14
	s_branch .LBB8_15
.LBB8_19:
	s_endpgm
	.section	.rodata,"a",@progbits
	.p2align	6, 0x0
	.amdhsa_kernel _ZN4vllm3moe17topkGatingSoftmaxILi4ELi16ELi4ELi16ELi64EiEEvPKfPKbPfiPT4_Piiii
		.amdhsa_group_segment_fixed_size 4096
		.amdhsa_private_segment_fixed_size 0
		.amdhsa_kernarg_size 60
		.amdhsa_user_sgpr_count 8
		.amdhsa_user_sgpr_private_segment_buffer 1
		.amdhsa_user_sgpr_dispatch_ptr 1
		.amdhsa_user_sgpr_queue_ptr 0
		.amdhsa_user_sgpr_kernarg_segment_ptr 1
		.amdhsa_user_sgpr_dispatch_id 0
		.amdhsa_user_sgpr_flat_scratch_init 0
		.amdhsa_user_sgpr_kernarg_preload_length 0
		.amdhsa_user_sgpr_kernarg_preload_offset 0
		.amdhsa_user_sgpr_private_segment_size 0
		.amdhsa_uses_dynamic_stack 0
		.amdhsa_system_sgpr_private_segment_wavefront_offset 0
		.amdhsa_system_sgpr_workgroup_id_x 1
		.amdhsa_system_sgpr_workgroup_id_y 0
		.amdhsa_system_sgpr_workgroup_id_z 0
		.amdhsa_system_sgpr_workgroup_info 0
		.amdhsa_system_vgpr_workitem_id 2
		.amdhsa_next_free_vgpr 24
		.amdhsa_next_free_sgpr 21
		.amdhsa_accum_offset 24
		.amdhsa_reserve_vcc 1
		.amdhsa_reserve_flat_scratch 0
		.amdhsa_float_round_mode_32 0
		.amdhsa_float_round_mode_16_64 0
		.amdhsa_float_denorm_mode_32 3
		.amdhsa_float_denorm_mode_16_64 3
		.amdhsa_dx10_clamp 1
		.amdhsa_ieee_mode 1
		.amdhsa_fp16_overflow 0
		.amdhsa_tg_split 0
		.amdhsa_exception_fp_ieee_invalid_op 0
		.amdhsa_exception_fp_denorm_src 0
		.amdhsa_exception_fp_ieee_div_zero 0
		.amdhsa_exception_fp_ieee_overflow 0
		.amdhsa_exception_fp_ieee_underflow 0
		.amdhsa_exception_fp_ieee_inexact 0
		.amdhsa_exception_int_div_zero 0
	.end_amdhsa_kernel
	.section	.text._ZN4vllm3moe17topkGatingSoftmaxILi4ELi16ELi4ELi16ELi64EiEEvPKfPKbPfiPT4_Piiii,"axG",@progbits,_ZN4vllm3moe17topkGatingSoftmaxILi4ELi16ELi4ELi16ELi64EiEEvPKfPKbPfiPT4_Piiii,comdat
.Lfunc_end8:
	.size	_ZN4vllm3moe17topkGatingSoftmaxILi4ELi16ELi4ELi16ELi64EiEEvPKfPKbPfiPT4_Piiii, .Lfunc_end8-_ZN4vllm3moe17topkGatingSoftmaxILi4ELi16ELi4ELi16ELi64EiEEvPKfPKbPfiPT4_Piiii
                                        ; -- End function
	.section	.AMDGPU.csdata,"",@progbits
; Kernel info:
; codeLenInByte = 1508
; NumSgprs: 25
; NumVgprs: 24
; NumAgprs: 0
; TotalNumVgprs: 24
; ScratchSize: 0
; MemoryBound: 0
; FloatMode: 240
; IeeeMode: 1
; LDSByteSize: 4096 bytes/workgroup (compile time only)
; SGPRBlocks: 3
; VGPRBlocks: 2
; NumSGPRsForWavesPerEU: 25
; NumVGPRsForWavesPerEU: 24
; AccumOffset: 24
; Occupancy: 8
; WaveLimiterHint : 0
; COMPUTE_PGM_RSRC2:SCRATCH_EN: 0
; COMPUTE_PGM_RSRC2:USER_SGPR: 8
; COMPUTE_PGM_RSRC2:TRAP_HANDLER: 0
; COMPUTE_PGM_RSRC2:TGID_X_EN: 1
; COMPUTE_PGM_RSRC2:TGID_Y_EN: 0
; COMPUTE_PGM_RSRC2:TGID_Z_EN: 0
; COMPUTE_PGM_RSRC2:TIDIG_COMP_CNT: 2
; COMPUTE_PGM_RSRC3_GFX90A:ACCUM_OFFSET: 5
; COMPUTE_PGM_RSRC3_GFX90A:TG_SPLIT: 0
	.section	.text._ZN4vllm3moe17topkGatingSoftmaxILi4ELi16ELi4ELi16ELi32EiEEvPKfPKbPfiPT4_Piiii,"axG",@progbits,_ZN4vllm3moe17topkGatingSoftmaxILi4ELi16ELi4ELi16ELi32EiEEvPKfPKbPfiPT4_Piiii,comdat
	.protected	_ZN4vllm3moe17topkGatingSoftmaxILi4ELi16ELi4ELi16ELi32EiEEvPKfPKbPfiPT4_Piiii ; -- Begin function _ZN4vllm3moe17topkGatingSoftmaxILi4ELi16ELi4ELi16ELi32EiEEvPKfPKbPfiPT4_Piiii
	.globl	_ZN4vllm3moe17topkGatingSoftmaxILi4ELi16ELi4ELi16ELi32EiEEvPKfPKbPfiPT4_Piiii
	.p2align	8
	.type	_ZN4vllm3moe17topkGatingSoftmaxILi4ELi16ELi4ELi16ELi32EiEEvPKfPKbPfiPT4_Piiii,@function
_ZN4vllm3moe17topkGatingSoftmaxILi4ELi16ELi4ELi16ELi32EiEEvPKfPKbPfiPT4_Piiii: ; @_ZN4vllm3moe17topkGatingSoftmaxILi4ELi16ELi4ELi16ELi32EiEEvPKfPKbPfiPT4_Piiii
; %bb.0:
	s_load_dword s20, s[6:7], 0x18
	v_and_b32_e32 v5, 0x3ff, v0
	v_bfe_u32 v6, v0, 10, 10
	s_lshl_b32 s0, s8, 5
	v_lshlrev_b32_e32 v1, 3, v6
	v_lshrrev_b32_e32 v2, 2, v5
	v_add3_u32 v1, s0, v1, v2
	s_waitcnt lgkmcnt(0)
	v_cmp_gt_i32_e32 vcc, s20, v1
	s_and_saveexec_b64 s[0:1], vcc
	s_cbranch_execz .LBB9_19
; %bb.1:
	s_load_dwordx4 s[0:3], s[6:7], 0x0
	s_load_dwordx2 s[12:13], s[6:7], 0x10
	s_waitcnt lgkmcnt(0)
	s_cmp_eq_u64 s[2:3], 0
	s_cbranch_scc1 .LBB9_3
; %bb.2:
	v_ashrrev_i32_e32 v3, 31, v1
	v_mov_b32_e32 v4, s3
	v_add_co_u32_e32 v2, vcc, s2, v1
	v_addc_co_u32_e32 v3, vcc, v4, v3, vcc
	global_load_ubyte v2, v[2:3], off
	s_waitcnt vmcnt(0)
	v_and_b32_e32 v2, 1, v2
	v_cmp_eq_u32_e32 vcc, 1, v2
	s_xor_b64 s[2:3], vcc, -1
	s_orn2_b64 s[14:15], s[2:3], exec
	s_branch .LBB9_4
.LBB9_3:
	s_mov_b64 s[14:15], -1
.LBB9_4:
	v_lshlrev_b32_e32 v2, 4, v1
	v_ashrrev_i32_e32 v3, 31, v2
	v_lshlrev_b64 v[2:3], 2, v[2:3]
	v_mov_b32_e32 v4, s1
	v_add_co_u32_e32 v7, vcc, s0, v2
	v_and_b32_e32 v2, 3, v5
	v_addc_co_u32_e32 v3, vcc, v4, v3, vcc
	v_lshlrev_b32_e32 v4, 4, v2
	v_add_co_u32_e32 v8, vcc, v7, v4
	v_addc_co_u32_e32 v9, vcc, 0, v3, vcc
	global_load_dwordx4 v[8:11], v[8:9], off
	v_mbcnt_lo_u32_b32 v3, -1, 0
	v_mbcnt_hi_u32_b32 v4, -1, v3
	v_and_b32_e32 v3, 0x7c, v4
	v_xor_b32_e32 v7, 2, v4
	v_add_u32_e32 v12, 4, v3
	v_cmp_lt_i32_e32 vcc, v7, v12
	v_cndmask_b32_e32 v3, v4, v7, vcc
	v_lshlrev_b32_e32 v3, 2, v3
	v_xor_b32_e32 v14, 1, v4
	v_cmp_lt_i32_e32 vcc, v14, v12
	v_cndmask_b32_e32 v4, v4, v14, vcc
	v_lshlrev_b32_e32 v4, 2, v4
	s_mov_b32 s0, 0x3fb8aa3b
	s_mov_b32 s1, 0xc2ce8ed0
	;; [unrolled: 1-line block ×3, first 2 shown]
	v_bfe_u32 v0, v0, 20, 10
	s_waitcnt vmcnt(0)
	v_max_f32_e32 v7, v9, v9
	v_max_f32_e32 v13, v8, v8
	;; [unrolled: 1-line block ×3, first 2 shown]
	v_max3_f32 v7, v7, v10, v11
	ds_bpermute_b32 v13, v3, v7
	s_waitcnt lgkmcnt(0)
	v_max_f32_e32 v12, v13, v13
	v_max_f32_e32 v7, v7, v12
	ds_bpermute_b32 v12, v4, v7
	v_mov_b32_e32 v13, 0x7f800000
	s_waitcnt lgkmcnt(0)
	v_max_f32_e32 v12, v12, v12
	v_max_f32_e32 v12, v7, v12
	v_pk_add_f32 v[10:11], v[10:11], v[12:13] op_sel_hi:[1,0] neg_lo:[0,1] neg_hi:[0,1]
	v_mul_f32_e32 v7, 0x3fb8aa3b, v11
	v_pk_add_f32 v[8:9], v[8:9], v[12:13] op_sel_hi:[1,0] neg_lo:[0,1] neg_hi:[0,1]
	v_mul_f32_e32 v12, 0x3fb8aa3b, v10
	v_fma_f32 v16, v11, s0, -v7
	v_rndne_f32_e32 v17, v7
	v_mul_f32_e32 v14, 0x3fb8aa3b, v9
	v_fma_f32 v18, v10, s0, -v12
	v_rndne_f32_e32 v19, v12
	v_fmac_f32_e32 v16, 0x32a5705f, v11
	v_sub_f32_e32 v7, v7, v17
	v_mul_f32_e32 v15, 0x3fb8aa3b, v8
	v_fma_f32 v20, v9, s0, -v14
	v_rndne_f32_e32 v21, v14
	v_fmac_f32_e32 v18, 0x32a5705f, v10
	v_sub_f32_e32 v12, v12, v19
	v_add_f32_e32 v7, v7, v16
	v_fma_f32 v22, v8, s0, -v15
	v_rndne_f32_e32 v23, v15
	v_cvt_i32_f32_e32 v17, v17
	v_fmac_f32_e32 v20, 0x32a5705f, v9
	v_sub_f32_e32 v14, v14, v21
	v_add_f32_e32 v12, v12, v18
	v_exp_f32_e32 v7, v7
	v_cvt_i32_f32_e32 v19, v19
	v_fmac_f32_e32 v22, 0x32a5705f, v8
	v_sub_f32_e32 v15, v15, v23
	v_add_f32_e32 v14, v14, v20
	v_exp_f32_e32 v12, v12
	v_cvt_i32_f32_e32 v21, v21
	v_add_f32_e32 v15, v15, v22
	v_exp_f32_e32 v14, v14
	v_cvt_i32_f32_e32 v23, v23
	v_exp_f32_e32 v15, v15
	v_ldexp_f32 v7, v7, v17
	v_cmp_ngt_f32_e32 vcc, s1, v11
	v_ldexp_f32 v12, v12, v19
	v_cndmask_b32_e32 v7, 0, v7, vcc
	v_cmp_ngt_f32_e32 vcc, s1, v10
	v_ldexp_f32 v14, v14, v21
	v_cndmask_b32_e32 v12, 0, v12, vcc
	;; [unrolled: 3-line block ×3, first 2 shown]
	v_cmp_ngt_f32_e32 vcc, s1, v8
	v_cndmask_b32_e32 v15, 0, v15, vcc
	v_cmp_nlt_f32_e32 vcc, s2, v11
	v_cndmask_b32_e32 v11, v13, v7, vcc
	v_cmp_nlt_f32_e32 vcc, s2, v10
	;; [unrolled: 2-line block ×4, first 2 shown]
	v_cndmask_b32_e32 v8, v13, v15, vcc
	v_add_f32_e32 v7, v8, v9
	v_add_f32_e32 v7, v7, v10
	;; [unrolled: 1-line block ×3, first 2 shown]
	ds_bpermute_b32 v12, v3, v7
	s_load_dwordx4 s[8:11], s[6:7], 0x30
	s_load_dwordx2 s[0:1], s[4:5], 0x4
	s_waitcnt lgkmcnt(0)
	s_mov_b32 s11, 0
	v_add_f32_e32 v7, v7, v12
	ds_bpermute_b32 v12, v4, v7
	s_lshr_b32 s0, s0, 16
	v_mul_u32_u24_e32 v6, s1, v6
	s_mul_i32 s0, s0, s1
	v_mad_u32_u24 v5, s0, v5, v6
	s_waitcnt lgkmcnt(0)
	v_add_f32_e32 v6, v7, v12
	v_div_scale_f32 v7, s[0:1], v6, v6, 1.0
	v_rcp_f32_e32 v12, v7
	v_add_lshl_u32 v0, v5, v0, 4
	v_div_scale_f32 v5, vcc, 1.0, v6, 1.0
	v_fma_f32 v13, -v7, v12, 1.0
	v_fmac_f32_e32 v12, v13, v12
	v_mul_f32_e32 v13, v5, v12
	v_fma_f32 v14, -v7, v13, v5
	v_fmac_f32_e32 v13, v14, v12
	v_fma_f32 v5, -v7, v13, v5
	v_div_fmas_f32 v5, v5, v12, v13
	v_div_fixup_f32 v12, v5, v6, 1.0
	v_pk_mul_f32 v[6:7], v[12:13], v[8:9] op_sel_hi:[0,1]
	v_pk_mul_f32 v[8:9], v[12:13], v[10:11] op_sel_hi:[0,1]
	s_cmp_lt_i32 s8, 1
	ds_write_b128 v0, v[6:9]
	s_cbranch_scc1 .LBB9_19
; %bb.5:
	s_load_dwordx4 s[4:7], s[6:7], 0x20
	v_lshlrev_b32_e32 v5, 2, v2
	v_cmp_eq_u32_e32 vcc, 0, v2
	v_mul_lo_u32 v6, v1, s8
	v_mov_b32_e32 v7, 0xc61c4000
	s_branch .LBB9_7
.LBB9_6:                                ;   in Loop: Header=BB9_7 Depth=1
	s_or_b64 exec, exec, s[0:1]
	s_cmp_lg_u32 s8, s11
	v_add_u32_e32 v1, s20, v1
	s_cbranch_scc0 .LBB9_19
.LBB9_7:                                ; =>This Inner Loop Header: Depth=1
	ds_read_b128 v[8:11], v0
	s_waitcnt lgkmcnt(0)
	v_cmp_gt_f32_e64 s[0:1], v9, v8
	v_cndmask_b32_e64 v8, v8, v9, s[0:1]
	v_cndmask_b32_e64 v9, 0, 1, s[0:1]
	v_cmp_gt_f32_e64 s[0:1], v10, v8
	v_cndmask_b32_e64 v8, v8, v10, s[0:1]
	v_cndmask_b32_e64 v10, v9, 2, s[0:1]
	;; [unrolled: 3-line block ×3, first 2 shown]
	ds_bpermute_b32 v10, v3, v9
	v_or_b32_e32 v8, v5, v8
	ds_bpermute_b32 v11, v3, v8
	s_waitcnt lgkmcnt(1)
	v_cmp_lt_f32_e64 s[16:17], v9, v10
	v_cmp_nlt_f32_e64 s[0:1], v9, v10
	s_and_saveexec_b64 s[18:19], s[0:1]
	s_cbranch_execz .LBB9_9
; %bb.8:                                ;   in Loop: Header=BB9_7 Depth=1
	v_cmp_eq_f32_e64 s[0:1], v9, v10
	s_waitcnt lgkmcnt(0)
	v_cmp_lt_i32_e64 s[2:3], v11, v8
	s_and_b64 s[0:1], s[0:1], s[2:3]
	s_andn2_b64 s[2:3], s[16:17], exec
	s_and_b64 s[0:1], s[0:1], exec
	s_or_b64 s[16:17], s[2:3], s[0:1]
.LBB9_9:                                ;   in Loop: Header=BB9_7 Depth=1
	s_or_b64 exec, exec, s[18:19]
	s_and_saveexec_b64 s[0:1], s[16:17]
	s_cbranch_execz .LBB9_11
; %bb.10:                               ;   in Loop: Header=BB9_7 Depth=1
	v_mov_b32_e32 v9, v10
	s_waitcnt lgkmcnt(0)
	v_mov_b32_e32 v8, v11
.LBB9_11:                               ;   in Loop: Header=BB9_7 Depth=1
	s_or_b64 exec, exec, s[0:1]
	ds_bpermute_b32 v10, v4, v9
	s_waitcnt lgkmcnt(1)
	ds_bpermute_b32 v11, v4, v8
	s_waitcnt lgkmcnt(1)
	v_cmp_lt_f32_e64 s[16:17], v9, v10
	v_cmp_nlt_f32_e64 s[0:1], v9, v10
	s_and_saveexec_b64 s[18:19], s[0:1]
	s_cbranch_execnz .LBB9_17
; %bb.12:                               ;   in Loop: Header=BB9_7 Depth=1
	s_or_b64 exec, exec, s[18:19]
	s_and_saveexec_b64 s[0:1], s[16:17]
	s_cbranch_execnz .LBB9_18
.LBB9_13:                               ;   in Loop: Header=BB9_7 Depth=1
	s_or_b64 exec, exec, s[0:1]
	s_and_saveexec_b64 s[16:17], vcc
	s_cbranch_execz .LBB9_15
.LBB9_14:                               ;   in Loop: Header=BB9_7 Depth=1
	v_add_u32_e32 v10, s11, v6
	s_waitcnt lgkmcnt(0)
	v_ashrrev_i32_e32 v11, 31, v10
	v_cmp_le_i32_e64 s[0:1], s9, v8
	v_cmp_gt_i32_e64 s[2:3], s10, v8
	v_lshlrev_b64 v[10:11], 2, v[10:11]
	s_and_b64 s[2:3], s[0:1], s[2:3]
	v_mov_b32_e32 v13, s13
	v_add_co_u32_e64 v12, s[0:1], s12, v10
	v_addc_co_u32_e64 v13, s[0:1], v13, v11, s[0:1]
	global_store_dword v[12:13], v9, off
	v_subrev_u32_e32 v9, s9, v8
	s_and_b64 s[0:1], s[14:15], s[2:3]
	v_cndmask_b32_e64 v9, 16, v9, s[0:1]
	v_mov_b32_e32 v13, s5
	v_add_co_u32_e64 v12, s[0:1], s4, v10
	v_addc_co_u32_e64 v13, s[0:1], v13, v11, s[0:1]
	global_store_dword v[12:13], v9, off
	v_mov_b32_e32 v9, s7
	v_add_co_u32_e64 v10, s[0:1], s6, v10
	v_addc_co_u32_e64 v11, s[0:1], v9, v11, s[0:1]
	global_store_dword v[10:11], v1, off
.LBB9_15:                               ;   in Loop: Header=BB9_7 Depth=1
	s_or_b64 exec, exec, s[16:17]
	v_ashrrev_i32_e32 v9, 31, v8
	v_lshrrev_b32_e32 v10, 30, v9
	v_add_u32_e32 v10, v8, v10
	v_ashrrev_i32_e32 v10, 2, v10
	s_waitcnt lgkmcnt(0)
	v_lshrrev_b32_e32 v11, 30, v10
	v_add_u32_e32 v11, v10, v11
	s_add_i32 s11, s11, 1
	v_and_b32_e32 v11, -4, v11
	s_cmp_lt_i32 s11, s8
	v_sub_u32_e32 v11, v10, v11
	s_cselect_b64 s[2:3], -1, 0
	v_cmp_eq_u32_e64 s[0:1], v2, v11
	s_and_b64 s[2:3], s[2:3], s[0:1]
	s_and_saveexec_b64 s[0:1], s[2:3]
	s_cbranch_execz .LBB9_6
; %bb.16:                               ;   in Loop: Header=BB9_7 Depth=1
	v_lshrrev_b32_e32 v9, 28, v9
	v_add_u32_e32 v9, v8, v9
	v_lshlrev_b32_e32 v10, 2, v10
	v_lshrrev_b32_e32 v9, 2, v9
	v_sub_u32_e32 v8, v8, v10
	v_and_b32_e32 v9, 0x3ffffffc, v9
	v_add_u32_e32 v8, v9, v8
	v_lshl_add_u32 v8, v8, 2, v0
	ds_write_b32 v8, v7
	s_branch .LBB9_6
.LBB9_17:                               ;   in Loop: Header=BB9_7 Depth=1
	v_cmp_eq_f32_e64 s[0:1], v9, v10
	s_waitcnt lgkmcnt(0)
	v_cmp_lt_i32_e64 s[2:3], v11, v8
	s_and_b64 s[0:1], s[0:1], s[2:3]
	s_andn2_b64 s[2:3], s[16:17], exec
	s_and_b64 s[0:1], s[0:1], exec
	s_or_b64 s[16:17], s[2:3], s[0:1]
	s_or_b64 exec, exec, s[18:19]
	s_and_saveexec_b64 s[0:1], s[16:17]
	s_cbranch_execz .LBB9_13
.LBB9_18:                               ;   in Loop: Header=BB9_7 Depth=1
	v_mov_b32_e32 v9, v10
	s_waitcnt lgkmcnt(0)
	v_mov_b32_e32 v8, v11
	s_or_b64 exec, exec, s[0:1]
	s_and_saveexec_b64 s[16:17], vcc
	s_cbranch_execnz .LBB9_14
	s_branch .LBB9_15
.LBB9_19:
	s_endpgm
	.section	.rodata,"a",@progbits
	.p2align	6, 0x0
	.amdhsa_kernel _ZN4vllm3moe17topkGatingSoftmaxILi4ELi16ELi4ELi16ELi32EiEEvPKfPKbPfiPT4_Piiii
		.amdhsa_group_segment_fixed_size 2048
		.amdhsa_private_segment_fixed_size 0
		.amdhsa_kernarg_size 60
		.amdhsa_user_sgpr_count 8
		.amdhsa_user_sgpr_private_segment_buffer 1
		.amdhsa_user_sgpr_dispatch_ptr 1
		.amdhsa_user_sgpr_queue_ptr 0
		.amdhsa_user_sgpr_kernarg_segment_ptr 1
		.amdhsa_user_sgpr_dispatch_id 0
		.amdhsa_user_sgpr_flat_scratch_init 0
		.amdhsa_user_sgpr_kernarg_preload_length 0
		.amdhsa_user_sgpr_kernarg_preload_offset 0
		.amdhsa_user_sgpr_private_segment_size 0
		.amdhsa_uses_dynamic_stack 0
		.amdhsa_system_sgpr_private_segment_wavefront_offset 0
		.amdhsa_system_sgpr_workgroup_id_x 1
		.amdhsa_system_sgpr_workgroup_id_y 0
		.amdhsa_system_sgpr_workgroup_id_z 0
		.amdhsa_system_sgpr_workgroup_info 0
		.amdhsa_system_vgpr_workitem_id 2
		.amdhsa_next_free_vgpr 24
		.amdhsa_next_free_sgpr 21
		.amdhsa_accum_offset 24
		.amdhsa_reserve_vcc 1
		.amdhsa_reserve_flat_scratch 0
		.amdhsa_float_round_mode_32 0
		.amdhsa_float_round_mode_16_64 0
		.amdhsa_float_denorm_mode_32 3
		.amdhsa_float_denorm_mode_16_64 3
		.amdhsa_dx10_clamp 1
		.amdhsa_ieee_mode 1
		.amdhsa_fp16_overflow 0
		.amdhsa_tg_split 0
		.amdhsa_exception_fp_ieee_invalid_op 0
		.amdhsa_exception_fp_denorm_src 0
		.amdhsa_exception_fp_ieee_div_zero 0
		.amdhsa_exception_fp_ieee_overflow 0
		.amdhsa_exception_fp_ieee_underflow 0
		.amdhsa_exception_fp_ieee_inexact 0
		.amdhsa_exception_int_div_zero 0
	.end_amdhsa_kernel
	.section	.text._ZN4vllm3moe17topkGatingSoftmaxILi4ELi16ELi4ELi16ELi32EiEEvPKfPKbPfiPT4_Piiii,"axG",@progbits,_ZN4vllm3moe17topkGatingSoftmaxILi4ELi16ELi4ELi16ELi32EiEEvPKfPKbPfiPT4_Piiii,comdat
.Lfunc_end9:
	.size	_ZN4vllm3moe17topkGatingSoftmaxILi4ELi16ELi4ELi16ELi32EiEEvPKfPKbPfiPT4_Piiii, .Lfunc_end9-_ZN4vllm3moe17topkGatingSoftmaxILi4ELi16ELi4ELi16ELi32EiEEvPKfPKbPfiPT4_Piiii
                                        ; -- End function
	.section	.AMDGPU.csdata,"",@progbits
; Kernel info:
; codeLenInByte = 1504
; NumSgprs: 25
; NumVgprs: 24
; NumAgprs: 0
; TotalNumVgprs: 24
; ScratchSize: 0
; MemoryBound: 0
; FloatMode: 240
; IeeeMode: 1
; LDSByteSize: 2048 bytes/workgroup (compile time only)
; SGPRBlocks: 3
; VGPRBlocks: 2
; NumSGPRsForWavesPerEU: 25
; NumVGPRsForWavesPerEU: 24
; AccumOffset: 24
; Occupancy: 8
; WaveLimiterHint : 0
; COMPUTE_PGM_RSRC2:SCRATCH_EN: 0
; COMPUTE_PGM_RSRC2:USER_SGPR: 8
; COMPUTE_PGM_RSRC2:TRAP_HANDLER: 0
; COMPUTE_PGM_RSRC2:TGID_X_EN: 1
; COMPUTE_PGM_RSRC2:TGID_Y_EN: 0
; COMPUTE_PGM_RSRC2:TGID_Z_EN: 0
; COMPUTE_PGM_RSRC2:TIDIG_COMP_CNT: 2
; COMPUTE_PGM_RSRC3_GFX90A:ACCUM_OFFSET: 5
; COMPUTE_PGM_RSRC3_GFX90A:TG_SPLIT: 0
	.section	.text._ZN4vllm3moe17topkGatingSoftmaxILi4ELi32ELi4ELi16ELi64EiEEvPKfPKbPfiPT4_Piiii,"axG",@progbits,_ZN4vllm3moe17topkGatingSoftmaxILi4ELi32ELi4ELi16ELi64EiEEvPKfPKbPfiPT4_Piiii,comdat
	.protected	_ZN4vllm3moe17topkGatingSoftmaxILi4ELi32ELi4ELi16ELi64EiEEvPKfPKbPfiPT4_Piiii ; -- Begin function _ZN4vllm3moe17topkGatingSoftmaxILi4ELi32ELi4ELi16ELi64EiEEvPKfPKbPfiPT4_Piiii
	.globl	_ZN4vllm3moe17topkGatingSoftmaxILi4ELi32ELi4ELi16ELi64EiEEvPKfPKbPfiPT4_Piiii
	.p2align	8
	.type	_ZN4vllm3moe17topkGatingSoftmaxILi4ELi32ELi4ELi16ELi64EiEEvPKfPKbPfiPT4_Piiii,@function
_ZN4vllm3moe17topkGatingSoftmaxILi4ELi32ELi4ELi16ELi64EiEEvPKfPKbPfiPT4_Piiii: ; @_ZN4vllm3moe17topkGatingSoftmaxILi4ELi32ELi4ELi16ELi64EiEEvPKfPKbPfiPT4_Piiii
; %bb.0:
	s_load_dword s20, s[6:7], 0x18
	v_and_b32_e32 v6, 0x3ff, v0
	v_bfe_u32 v7, v0, 10, 10
	s_lshl_b32 s0, s8, 5
	v_lshlrev_b32_e32 v1, 3, v7
	v_lshrrev_b32_e32 v2, 3, v6
	v_add3_u32 v1, s0, v1, v2
	s_waitcnt lgkmcnt(0)
	v_cmp_gt_i32_e32 vcc, s20, v1
	s_and_saveexec_b64 s[0:1], vcc
	s_cbranch_execz .LBB10_23
; %bb.1:
	s_load_dwordx4 s[0:3], s[6:7], 0x0
	s_load_dwordx2 s[12:13], s[6:7], 0x10
	s_waitcnt lgkmcnt(0)
	s_cmp_eq_u64 s[2:3], 0
	s_cbranch_scc1 .LBB10_3
; %bb.2:
	v_ashrrev_i32_e32 v3, 31, v1
	v_mov_b32_e32 v4, s3
	v_add_co_u32_e32 v2, vcc, s2, v1
	v_addc_co_u32_e32 v3, vcc, v4, v3, vcc
	global_load_ubyte v2, v[2:3], off
	s_waitcnt vmcnt(0)
	v_and_b32_e32 v2, 1, v2
	v_cmp_eq_u32_e32 vcc, 1, v2
	s_xor_b64 s[2:3], vcc, -1
	s_orn2_b64 s[14:15], s[2:3], exec
	s_branch .LBB10_4
.LBB10_3:
	s_mov_b64 s[14:15], -1
.LBB10_4:
	v_lshlrev_b32_e32 v2, 5, v1
	v_ashrrev_i32_e32 v3, 31, v2
	v_lshlrev_b64 v[2:3], 2, v[2:3]
	v_mov_b32_e32 v4, s1
	v_add_co_u32_e32 v5, vcc, s0, v2
	v_and_b32_e32 v2, 7, v6
	v_addc_co_u32_e32 v3, vcc, v4, v3, vcc
	v_lshlrev_b32_e32 v4, 4, v2
	v_add_co_u32_e32 v4, vcc, v5, v4
	v_addc_co_u32_e32 v5, vcc, 0, v3, vcc
	global_load_dwordx4 v[8:11], v[4:5], off
	v_mbcnt_lo_u32_b32 v3, -1, 0
	v_mbcnt_hi_u32_b32 v5, -1, v3
	v_and_b32_e32 v3, 0x78, v5
	v_xor_b32_e32 v4, 4, v5
	v_add_u32_e32 v12, 8, v3
	v_cmp_lt_i32_e32 vcc, v4, v12
	v_cndmask_b32_e32 v3, v5, v4, vcc
	v_lshlrev_b32_e32 v3, 2, v3
	v_xor_b32_e32 v15, 1, v5
	s_mov_b32 s0, 0x3fb8aa3b
	s_mov_b32 s1, 0xc2ce8ed0
	;; [unrolled: 1-line block ×3, first 2 shown]
	v_bfe_u32 v0, v0, 20, 10
	s_waitcnt vmcnt(0)
	v_max_f32_e32 v4, v9, v9
	v_max_f32_e32 v13, v8, v8
	;; [unrolled: 1-line block ×3, first 2 shown]
	v_max3_f32 v13, v4, v10, v11
	ds_bpermute_b32 v14, v3, v13
	v_xor_b32_e32 v4, 2, v5
	v_cmp_lt_i32_e32 vcc, v4, v12
	v_cndmask_b32_e32 v4, v5, v4, vcc
	v_lshlrev_b32_e32 v4, 2, v4
	s_waitcnt lgkmcnt(0)
	v_max_f32_e32 v14, v14, v14
	v_max_f32_e32 v13, v13, v14
	ds_bpermute_b32 v14, v4, v13
	v_cmp_lt_i32_e32 vcc, v15, v12
	v_cndmask_b32_e32 v5, v5, v15, vcc
	v_lshlrev_b32_e32 v5, 2, v5
	s_waitcnt lgkmcnt(0)
	v_max_f32_e32 v12, v14, v14
	v_max_f32_e32 v12, v13, v12
	ds_bpermute_b32 v13, v5, v12
	v_mov_b32_e32 v14, 0x7f800000
	s_waitcnt lgkmcnt(0)
	v_max_f32_e32 v13, v13, v13
	v_max_f32_e32 v12, v12, v13
	v_pk_add_f32 v[10:11], v[10:11], v[12:13] op_sel_hi:[1,0] neg_lo:[0,1] neg_hi:[0,1]
	v_pk_add_f32 v[8:9], v[8:9], v[12:13] op_sel_hi:[1,0] neg_lo:[0,1] neg_hi:[0,1]
	v_mul_f32_e32 v12, 0x3fb8aa3b, v11
	v_mul_f32_e32 v13, 0x3fb8aa3b, v10
	v_fma_f32 v17, v11, s0, -v12
	v_rndne_f32_e32 v18, v12
	v_mul_f32_e32 v15, 0x3fb8aa3b, v9
	v_fma_f32 v19, v10, s0, -v13
	v_rndne_f32_e32 v20, v13
	v_fmac_f32_e32 v17, 0x32a5705f, v11
	v_sub_f32_e32 v12, v12, v18
	v_mul_f32_e32 v16, 0x3fb8aa3b, v8
	v_fma_f32 v21, v9, s0, -v15
	v_rndne_f32_e32 v22, v15
	v_fmac_f32_e32 v19, 0x32a5705f, v10
	v_sub_f32_e32 v13, v13, v20
	v_add_f32_e32 v12, v12, v17
	v_fma_f32 v23, v8, s0, -v16
	v_rndne_f32_e32 v24, v16
	v_cvt_i32_f32_e32 v18, v18
	v_fmac_f32_e32 v21, 0x32a5705f, v9
	v_sub_f32_e32 v15, v15, v22
	v_add_f32_e32 v13, v13, v19
	v_exp_f32_e32 v12, v12
	v_cvt_i32_f32_e32 v20, v20
	v_fmac_f32_e32 v23, 0x32a5705f, v8
	v_sub_f32_e32 v16, v16, v24
	v_add_f32_e32 v15, v15, v21
	v_exp_f32_e32 v13, v13
	v_cvt_i32_f32_e32 v22, v22
	v_add_f32_e32 v16, v16, v23
	v_exp_f32_e32 v15, v15
	v_cvt_i32_f32_e32 v24, v24
	v_exp_f32_e32 v16, v16
	v_ldexp_f32 v12, v12, v18
	v_cmp_ngt_f32_e32 vcc, s1, v11
	v_ldexp_f32 v13, v13, v20
	v_cndmask_b32_e32 v12, 0, v12, vcc
	v_cmp_ngt_f32_e32 vcc, s1, v10
	v_ldexp_f32 v15, v15, v22
	v_cndmask_b32_e32 v13, 0, v13, vcc
	;; [unrolled: 3-line block ×3, first 2 shown]
	v_cmp_ngt_f32_e32 vcc, s1, v8
	v_cndmask_b32_e32 v16, 0, v16, vcc
	v_cmp_nlt_f32_e32 vcc, s2, v11
	v_cndmask_b32_e32 v11, v14, v12, vcc
	v_cmp_nlt_f32_e32 vcc, s2, v10
	;; [unrolled: 2-line block ×4, first 2 shown]
	v_cndmask_b32_e32 v8, v14, v16, vcc
	v_add_f32_e32 v12, v8, v9
	v_add_f32_e32 v12, v12, v10
	;; [unrolled: 1-line block ×3, first 2 shown]
	ds_bpermute_b32 v13, v3, v12
	s_load_dwordx4 s[8:11], s[6:7], 0x30
	s_load_dwordx2 s[0:1], s[4:5], 0x4
	s_waitcnt lgkmcnt(0)
	s_mov_b32 s11, 0
	v_add_f32_e32 v12, v12, v13
	ds_bpermute_b32 v13, v4, v12
	s_lshr_b32 s0, s0, 16
	s_mul_i32 s0, s0, s1
	v_mul_lo_u32 v6, s0, v6
	v_mad_u32_u24 v6, v7, s1, v6
	s_waitcnt lgkmcnt(0)
	v_add_f32_e32 v12, v12, v13
	ds_bpermute_b32 v13, v5, v12
	v_add_lshl_u32 v0, v6, v0, 4
	s_cmp_lt_i32 s8, 1
	s_waitcnt lgkmcnt(0)
	v_add_f32_e32 v7, v12, v13
	v_div_scale_f32 v12, s[0:1], v7, v7, 1.0
	v_rcp_f32_e32 v13, v12
	v_div_scale_f32 v6, vcc, 1.0, v7, 1.0
	v_fma_f32 v14, -v12, v13, 1.0
	v_fmac_f32_e32 v13, v14, v13
	v_mul_f32_e32 v14, v6, v13
	v_fma_f32 v15, -v12, v14, v6
	v_fmac_f32_e32 v14, v15, v13
	v_fma_f32 v6, -v12, v14, v6
	v_div_fmas_f32 v6, v6, v13, v14
	v_div_fixup_f32 v12, v6, v7, 1.0
	v_pk_mul_f32 v[6:7], v[12:13], v[8:9] op_sel_hi:[0,1]
	v_pk_mul_f32 v[8:9], v[12:13], v[10:11] op_sel_hi:[0,1]
	ds_write_b128 v0, v[6:9]
	s_cbranch_scc1 .LBB10_23
; %bb.5:
	s_load_dwordx4 s[4:7], s[6:7], 0x20
	v_lshlrev_b32_e32 v6, 2, v2
	v_cmp_eq_u32_e32 vcc, 0, v2
	v_mul_lo_u32 v7, v1, s8
	v_mov_b32_e32 v8, 0xc61c4000
	s_branch .LBB10_7
.LBB10_6:                               ;   in Loop: Header=BB10_7 Depth=1
	s_or_b64 exec, exec, s[0:1]
	s_cmp_lg_u32 s8, s11
	v_add_u32_e32 v1, s20, v1
	s_cbranch_scc0 .LBB10_23
.LBB10_7:                               ; =>This Inner Loop Header: Depth=1
	ds_read_b128 v[10:13], v0
	s_waitcnt lgkmcnt(0)
	v_cmp_gt_f32_e64 s[0:1], v11, v10
	v_cndmask_b32_e64 v9, v10, v11, s[0:1]
	v_cndmask_b32_e64 v10, 0, 1, s[0:1]
	v_cmp_gt_f32_e64 s[0:1], v12, v9
	v_cndmask_b32_e64 v9, v9, v12, s[0:1]
	v_cndmask_b32_e64 v11, v10, 2, s[0:1]
	;; [unrolled: 3-line block ×3, first 2 shown]
	ds_bpermute_b32 v11, v3, v10
	v_or_b32_e32 v9, v6, v9
	ds_bpermute_b32 v12, v3, v9
	s_waitcnt lgkmcnt(1)
	v_cmp_lt_f32_e64 s[16:17], v10, v11
	v_cmp_nlt_f32_e64 s[0:1], v10, v11
	s_and_saveexec_b64 s[18:19], s[0:1]
	s_cbranch_execz .LBB10_9
; %bb.8:                                ;   in Loop: Header=BB10_7 Depth=1
	v_cmp_eq_f32_e64 s[0:1], v10, v11
	s_waitcnt lgkmcnt(0)
	v_cmp_lt_i32_e64 s[2:3], v12, v9
	s_and_b64 s[0:1], s[0:1], s[2:3]
	s_andn2_b64 s[2:3], s[16:17], exec
	s_and_b64 s[0:1], s[0:1], exec
	s_or_b64 s[16:17], s[2:3], s[0:1]
.LBB10_9:                               ;   in Loop: Header=BB10_7 Depth=1
	s_or_b64 exec, exec, s[18:19]
	s_and_saveexec_b64 s[0:1], s[16:17]
	s_cbranch_execz .LBB10_11
; %bb.10:                               ;   in Loop: Header=BB10_7 Depth=1
	v_mov_b32_e32 v10, v11
	s_waitcnt lgkmcnt(0)
	v_mov_b32_e32 v9, v12
.LBB10_11:                              ;   in Loop: Header=BB10_7 Depth=1
	s_or_b64 exec, exec, s[0:1]
	s_waitcnt lgkmcnt(0)
	ds_bpermute_b32 v12, v4, v10
	ds_bpermute_b32 v11, v4, v9
	s_waitcnt lgkmcnt(1)
	v_cmp_lt_f32_e64 s[16:17], v10, v12
	v_cmp_nlt_f32_e64 s[0:1], v10, v12
	s_and_saveexec_b64 s[18:19], s[0:1]
	s_cbranch_execz .LBB10_13
; %bb.12:                               ;   in Loop: Header=BB10_7 Depth=1
	v_cmp_eq_f32_e64 s[0:1], v10, v12
	s_waitcnt lgkmcnt(0)
	v_cmp_lt_i32_e64 s[2:3], v11, v9
	s_and_b64 s[0:1], s[0:1], s[2:3]
	s_andn2_b64 s[2:3], s[16:17], exec
	s_and_b64 s[0:1], s[0:1], exec
	s_or_b64 s[16:17], s[2:3], s[0:1]
.LBB10_13:                              ;   in Loop: Header=BB10_7 Depth=1
	s_or_b64 exec, exec, s[18:19]
	s_and_saveexec_b64 s[0:1], s[16:17]
	s_cbranch_execz .LBB10_15
; %bb.14:                               ;   in Loop: Header=BB10_7 Depth=1
	v_mov_b32_e32 v10, v12
	s_waitcnt lgkmcnt(0)
	v_mov_b32_e32 v9, v11
.LBB10_15:                              ;   in Loop: Header=BB10_7 Depth=1
	s_or_b64 exec, exec, s[0:1]
	s_waitcnt lgkmcnt(0)
	ds_bpermute_b32 v11, v5, v10
	ds_bpermute_b32 v12, v5, v9
	s_waitcnt lgkmcnt(1)
	v_cmp_lt_f32_e64 s[16:17], v10, v11
	v_cmp_nlt_f32_e64 s[0:1], v10, v11
	s_and_saveexec_b64 s[18:19], s[0:1]
	s_cbranch_execnz .LBB10_21
; %bb.16:                               ;   in Loop: Header=BB10_7 Depth=1
	s_or_b64 exec, exec, s[18:19]
	s_and_saveexec_b64 s[0:1], s[16:17]
	s_cbranch_execnz .LBB10_22
.LBB10_17:                              ;   in Loop: Header=BB10_7 Depth=1
	s_or_b64 exec, exec, s[0:1]
	s_and_saveexec_b64 s[16:17], vcc
	s_cbranch_execz .LBB10_19
.LBB10_18:                              ;   in Loop: Header=BB10_7 Depth=1
	s_waitcnt lgkmcnt(0)
	v_add_u32_e32 v12, s11, v7
	v_ashrrev_i32_e32 v13, 31, v12
	v_cmp_le_i32_e64 s[0:1], s9, v9
	v_cmp_gt_i32_e64 s[2:3], s10, v9
	v_lshlrev_b64 v[12:13], 2, v[12:13]
	s_and_b64 s[2:3], s[0:1], s[2:3]
	v_mov_b32_e32 v11, s13
	v_add_co_u32_e64 v14, s[0:1], s12, v12
	v_addc_co_u32_e64 v15, s[0:1], v11, v13, s[0:1]
	global_store_dword v[14:15], v10, off
	v_subrev_u32_e32 v10, s9, v9
	s_and_b64 s[0:1], s[14:15], s[2:3]
	v_cndmask_b32_e64 v14, 32, v10, s[0:1]
	v_mov_b32_e32 v11, s5
	v_add_co_u32_e64 v10, s[0:1], s4, v12
	v_addc_co_u32_e64 v11, s[0:1], v11, v13, s[0:1]
	global_store_dword v[10:11], v14, off
	v_mov_b32_e32 v11, s7
	v_add_co_u32_e64 v10, s[0:1], s6, v12
	v_addc_co_u32_e64 v11, s[0:1], v11, v13, s[0:1]
	global_store_dword v[10:11], v1, off
.LBB10_19:                              ;   in Loop: Header=BB10_7 Depth=1
	s_or_b64 exec, exec, s[16:17]
	v_ashrrev_i32_e32 v11, 31, v9
	v_lshrrev_b32_e32 v10, 30, v11
	v_add_u32_e32 v10, v9, v10
	v_ashrrev_i32_e32 v10, 2, v10
	s_waitcnt lgkmcnt(0)
	v_lshrrev_b32_e32 v12, 29, v10
	v_add_u32_e32 v12, v10, v12
	s_add_i32 s11, s11, 1
	v_and_b32_e32 v12, -8, v12
	s_cmp_lt_i32 s11, s8
	v_sub_u32_e32 v12, v10, v12
	s_cselect_b64 s[2:3], -1, 0
	v_cmp_eq_u32_e64 s[0:1], v2, v12
	s_and_b64 s[2:3], s[2:3], s[0:1]
	s_and_saveexec_b64 s[0:1], s[2:3]
	s_cbranch_execz .LBB10_6
; %bb.20:                               ;   in Loop: Header=BB10_7 Depth=1
	v_lshrrev_b32_e32 v11, 27, v11
	v_add_u32_e32 v11, v9, v11
	v_lshlrev_b32_e32 v10, 2, v10
	v_ashrrev_i32_e32 v11, 5, v11
	v_sub_u32_e32 v9, v9, v10
	v_lshl_add_u32 v9, v11, 2, v9
	v_lshl_add_u32 v9, v9, 2, v0
	ds_write_b32 v9, v8
	s_branch .LBB10_6
.LBB10_21:                              ;   in Loop: Header=BB10_7 Depth=1
	v_cmp_eq_f32_e64 s[0:1], v10, v11
	s_waitcnt lgkmcnt(0)
	v_cmp_lt_i32_e64 s[2:3], v12, v9
	s_and_b64 s[0:1], s[0:1], s[2:3]
	s_andn2_b64 s[2:3], s[16:17], exec
	s_and_b64 s[0:1], s[0:1], exec
	s_or_b64 s[16:17], s[2:3], s[0:1]
	s_or_b64 exec, exec, s[18:19]
	s_and_saveexec_b64 s[0:1], s[16:17]
	s_cbranch_execz .LBB10_17
.LBB10_22:                              ;   in Loop: Header=BB10_7 Depth=1
	v_mov_b32_e32 v10, v11
	s_waitcnt lgkmcnt(0)
	v_mov_b32_e32 v9, v12
	s_or_b64 exec, exec, s[0:1]
	s_and_saveexec_b64 s[16:17], vcc
	s_cbranch_execnz .LBB10_18
	s_branch .LBB10_19
.LBB10_23:
	s_endpgm
	.section	.rodata,"a",@progbits
	.p2align	6, 0x0
	.amdhsa_kernel _ZN4vllm3moe17topkGatingSoftmaxILi4ELi32ELi4ELi16ELi64EiEEvPKfPKbPfiPT4_Piiii
		.amdhsa_group_segment_fixed_size 4096
		.amdhsa_private_segment_fixed_size 0
		.amdhsa_kernarg_size 60
		.amdhsa_user_sgpr_count 8
		.amdhsa_user_sgpr_private_segment_buffer 1
		.amdhsa_user_sgpr_dispatch_ptr 1
		.amdhsa_user_sgpr_queue_ptr 0
		.amdhsa_user_sgpr_kernarg_segment_ptr 1
		.amdhsa_user_sgpr_dispatch_id 0
		.amdhsa_user_sgpr_flat_scratch_init 0
		.amdhsa_user_sgpr_kernarg_preload_length 0
		.amdhsa_user_sgpr_kernarg_preload_offset 0
		.amdhsa_user_sgpr_private_segment_size 0
		.amdhsa_uses_dynamic_stack 0
		.amdhsa_system_sgpr_private_segment_wavefront_offset 0
		.amdhsa_system_sgpr_workgroup_id_x 1
		.amdhsa_system_sgpr_workgroup_id_y 0
		.amdhsa_system_sgpr_workgroup_id_z 0
		.amdhsa_system_sgpr_workgroup_info 0
		.amdhsa_system_vgpr_workitem_id 2
		.amdhsa_next_free_vgpr 25
		.amdhsa_next_free_sgpr 21
		.amdhsa_accum_offset 28
		.amdhsa_reserve_vcc 1
		.amdhsa_reserve_flat_scratch 0
		.amdhsa_float_round_mode_32 0
		.amdhsa_float_round_mode_16_64 0
		.amdhsa_float_denorm_mode_32 3
		.amdhsa_float_denorm_mode_16_64 3
		.amdhsa_dx10_clamp 1
		.amdhsa_ieee_mode 1
		.amdhsa_fp16_overflow 0
		.amdhsa_tg_split 0
		.amdhsa_exception_fp_ieee_invalid_op 0
		.amdhsa_exception_fp_denorm_src 0
		.amdhsa_exception_fp_ieee_div_zero 0
		.amdhsa_exception_fp_ieee_overflow 0
		.amdhsa_exception_fp_ieee_underflow 0
		.amdhsa_exception_fp_ieee_inexact 0
		.amdhsa_exception_int_div_zero 0
	.end_amdhsa_kernel
	.section	.text._ZN4vllm3moe17topkGatingSoftmaxILi4ELi32ELi4ELi16ELi64EiEEvPKfPKbPfiPT4_Piiii,"axG",@progbits,_ZN4vllm3moe17topkGatingSoftmaxILi4ELi32ELi4ELi16ELi64EiEEvPKfPKbPfiPT4_Piiii,comdat
.Lfunc_end10:
	.size	_ZN4vllm3moe17topkGatingSoftmaxILi4ELi32ELi4ELi16ELi64EiEEvPKfPKbPfiPT4_Piiii, .Lfunc_end10-_ZN4vllm3moe17topkGatingSoftmaxILi4ELi32ELi4ELi16ELi64EiEEvPKfPKbPfiPT4_Piiii
                                        ; -- End function
	.section	.AMDGPU.csdata,"",@progbits
; Kernel info:
; codeLenInByte = 1668
; NumSgprs: 25
; NumVgprs: 25
; NumAgprs: 0
; TotalNumVgprs: 25
; ScratchSize: 0
; MemoryBound: 0
; FloatMode: 240
; IeeeMode: 1
; LDSByteSize: 4096 bytes/workgroup (compile time only)
; SGPRBlocks: 3
; VGPRBlocks: 3
; NumSGPRsForWavesPerEU: 25
; NumVGPRsForWavesPerEU: 25
; AccumOffset: 28
; Occupancy: 8
; WaveLimiterHint : 0
; COMPUTE_PGM_RSRC2:SCRATCH_EN: 0
; COMPUTE_PGM_RSRC2:USER_SGPR: 8
; COMPUTE_PGM_RSRC2:TRAP_HANDLER: 0
; COMPUTE_PGM_RSRC2:TGID_X_EN: 1
; COMPUTE_PGM_RSRC2:TGID_Y_EN: 0
; COMPUTE_PGM_RSRC2:TGID_Z_EN: 0
; COMPUTE_PGM_RSRC2:TIDIG_COMP_CNT: 2
; COMPUTE_PGM_RSRC3_GFX90A:ACCUM_OFFSET: 6
; COMPUTE_PGM_RSRC3_GFX90A:TG_SPLIT: 0
	.section	.text._ZN4vllm3moe17topkGatingSoftmaxILi4ELi32ELi4ELi16ELi32EiEEvPKfPKbPfiPT4_Piiii,"axG",@progbits,_ZN4vllm3moe17topkGatingSoftmaxILi4ELi32ELi4ELi16ELi32EiEEvPKfPKbPfiPT4_Piiii,comdat
	.protected	_ZN4vllm3moe17topkGatingSoftmaxILi4ELi32ELi4ELi16ELi32EiEEvPKfPKbPfiPT4_Piiii ; -- Begin function _ZN4vllm3moe17topkGatingSoftmaxILi4ELi32ELi4ELi16ELi32EiEEvPKfPKbPfiPT4_Piiii
	.globl	_ZN4vllm3moe17topkGatingSoftmaxILi4ELi32ELi4ELi16ELi32EiEEvPKfPKbPfiPT4_Piiii
	.p2align	8
	.type	_ZN4vllm3moe17topkGatingSoftmaxILi4ELi32ELi4ELi16ELi32EiEEvPKfPKbPfiPT4_Piiii,@function
_ZN4vllm3moe17topkGatingSoftmaxILi4ELi32ELi4ELi16ELi32EiEEvPKfPKbPfiPT4_Piiii: ; @_ZN4vllm3moe17topkGatingSoftmaxILi4ELi32ELi4ELi16ELi32EiEEvPKfPKbPfiPT4_Piiii
; %bb.0:
	s_load_dword s20, s[6:7], 0x18
	v_and_b32_e32 v6, 0x3ff, v0
	v_bfe_u32 v7, v0, 10, 10
	s_lshl_b32 s0, s8, 4
	v_lshlrev_b32_e32 v1, 2, v7
	v_lshrrev_b32_e32 v2, 3, v6
	v_add3_u32 v1, s0, v1, v2
	s_waitcnt lgkmcnt(0)
	v_cmp_gt_i32_e32 vcc, s20, v1
	s_and_saveexec_b64 s[0:1], vcc
	s_cbranch_execz .LBB11_23
; %bb.1:
	s_load_dwordx4 s[0:3], s[6:7], 0x0
	s_load_dwordx2 s[12:13], s[6:7], 0x10
	s_waitcnt lgkmcnt(0)
	s_cmp_eq_u64 s[2:3], 0
	s_cbranch_scc1 .LBB11_3
; %bb.2:
	v_ashrrev_i32_e32 v3, 31, v1
	v_mov_b32_e32 v4, s3
	v_add_co_u32_e32 v2, vcc, s2, v1
	v_addc_co_u32_e32 v3, vcc, v4, v3, vcc
	global_load_ubyte v2, v[2:3], off
	s_waitcnt vmcnt(0)
	v_and_b32_e32 v2, 1, v2
	v_cmp_eq_u32_e32 vcc, 1, v2
	s_xor_b64 s[2:3], vcc, -1
	s_orn2_b64 s[14:15], s[2:3], exec
	s_branch .LBB11_4
.LBB11_3:
	s_mov_b64 s[14:15], -1
.LBB11_4:
	v_lshlrev_b32_e32 v2, 5, v1
	v_ashrrev_i32_e32 v3, 31, v2
	v_lshlrev_b64 v[2:3], 2, v[2:3]
	v_mov_b32_e32 v4, s1
	v_add_co_u32_e32 v5, vcc, s0, v2
	v_and_b32_e32 v2, 7, v6
	v_addc_co_u32_e32 v3, vcc, v4, v3, vcc
	v_lshlrev_b32_e32 v4, 4, v2
	v_add_co_u32_e32 v4, vcc, v5, v4
	v_addc_co_u32_e32 v5, vcc, 0, v3, vcc
	global_load_dwordx4 v[8:11], v[4:5], off
	v_mbcnt_lo_u32_b32 v3, -1, 0
	v_mbcnt_hi_u32_b32 v5, -1, v3
	v_and_b32_e32 v3, 0x78, v5
	v_xor_b32_e32 v4, 4, v5
	v_add_u32_e32 v12, 8, v3
	v_cmp_lt_i32_e32 vcc, v4, v12
	v_cndmask_b32_e32 v3, v5, v4, vcc
	v_lshlrev_b32_e32 v3, 2, v3
	v_xor_b32_e32 v15, 1, v5
	s_mov_b32 s0, 0x3fb8aa3b
	s_mov_b32 s1, 0xc2ce8ed0
	;; [unrolled: 1-line block ×3, first 2 shown]
	v_bfe_u32 v0, v0, 20, 10
	s_waitcnt vmcnt(0)
	v_max_f32_e32 v4, v9, v9
	v_max_f32_e32 v13, v8, v8
	;; [unrolled: 1-line block ×3, first 2 shown]
	v_max3_f32 v13, v4, v10, v11
	ds_bpermute_b32 v14, v3, v13
	v_xor_b32_e32 v4, 2, v5
	v_cmp_lt_i32_e32 vcc, v4, v12
	v_cndmask_b32_e32 v4, v5, v4, vcc
	v_lshlrev_b32_e32 v4, 2, v4
	s_waitcnt lgkmcnt(0)
	v_max_f32_e32 v14, v14, v14
	v_max_f32_e32 v13, v13, v14
	ds_bpermute_b32 v14, v4, v13
	v_cmp_lt_i32_e32 vcc, v15, v12
	v_cndmask_b32_e32 v5, v5, v15, vcc
	v_lshlrev_b32_e32 v5, 2, v5
	s_waitcnt lgkmcnt(0)
	v_max_f32_e32 v12, v14, v14
	v_max_f32_e32 v12, v13, v12
	ds_bpermute_b32 v13, v5, v12
	v_mov_b32_e32 v14, 0x7f800000
	s_waitcnt lgkmcnt(0)
	v_max_f32_e32 v13, v13, v13
	v_max_f32_e32 v12, v12, v13
	v_pk_add_f32 v[10:11], v[10:11], v[12:13] op_sel_hi:[1,0] neg_lo:[0,1] neg_hi:[0,1]
	v_pk_add_f32 v[8:9], v[8:9], v[12:13] op_sel_hi:[1,0] neg_lo:[0,1] neg_hi:[0,1]
	v_mul_f32_e32 v12, 0x3fb8aa3b, v11
	v_mul_f32_e32 v13, 0x3fb8aa3b, v10
	v_fma_f32 v17, v11, s0, -v12
	v_rndne_f32_e32 v18, v12
	v_mul_f32_e32 v15, 0x3fb8aa3b, v9
	v_fma_f32 v19, v10, s0, -v13
	v_rndne_f32_e32 v20, v13
	v_fmac_f32_e32 v17, 0x32a5705f, v11
	v_sub_f32_e32 v12, v12, v18
	v_mul_f32_e32 v16, 0x3fb8aa3b, v8
	v_fma_f32 v21, v9, s0, -v15
	v_rndne_f32_e32 v22, v15
	v_fmac_f32_e32 v19, 0x32a5705f, v10
	v_sub_f32_e32 v13, v13, v20
	v_add_f32_e32 v12, v12, v17
	v_fma_f32 v23, v8, s0, -v16
	v_rndne_f32_e32 v24, v16
	v_cvt_i32_f32_e32 v18, v18
	v_fmac_f32_e32 v21, 0x32a5705f, v9
	v_sub_f32_e32 v15, v15, v22
	v_add_f32_e32 v13, v13, v19
	v_exp_f32_e32 v12, v12
	v_cvt_i32_f32_e32 v20, v20
	v_fmac_f32_e32 v23, 0x32a5705f, v8
	v_sub_f32_e32 v16, v16, v24
	v_add_f32_e32 v15, v15, v21
	v_exp_f32_e32 v13, v13
	v_cvt_i32_f32_e32 v22, v22
	v_add_f32_e32 v16, v16, v23
	v_exp_f32_e32 v15, v15
	v_cvt_i32_f32_e32 v24, v24
	v_exp_f32_e32 v16, v16
	v_ldexp_f32 v12, v12, v18
	v_cmp_ngt_f32_e32 vcc, s1, v11
	v_ldexp_f32 v13, v13, v20
	v_cndmask_b32_e32 v12, 0, v12, vcc
	v_cmp_ngt_f32_e32 vcc, s1, v10
	v_ldexp_f32 v15, v15, v22
	v_cndmask_b32_e32 v13, 0, v13, vcc
	;; [unrolled: 3-line block ×3, first 2 shown]
	v_cmp_ngt_f32_e32 vcc, s1, v8
	v_cndmask_b32_e32 v16, 0, v16, vcc
	v_cmp_nlt_f32_e32 vcc, s2, v11
	v_cndmask_b32_e32 v11, v14, v12, vcc
	v_cmp_nlt_f32_e32 vcc, s2, v10
	;; [unrolled: 2-line block ×4, first 2 shown]
	v_cndmask_b32_e32 v8, v14, v16, vcc
	v_add_f32_e32 v12, v8, v9
	v_add_f32_e32 v12, v12, v10
	;; [unrolled: 1-line block ×3, first 2 shown]
	ds_bpermute_b32 v13, v3, v12
	s_load_dwordx4 s[8:11], s[6:7], 0x30
	s_load_dwordx2 s[0:1], s[4:5], 0x4
	s_waitcnt lgkmcnt(0)
	s_mov_b32 s11, 0
	v_add_f32_e32 v12, v12, v13
	ds_bpermute_b32 v13, v4, v12
	s_lshr_b32 s0, s0, 16
	v_mul_u32_u24_e32 v7, s1, v7
	s_mul_i32 s0, s0, s1
	v_mad_u32_u24 v6, s0, v6, v7
	s_waitcnt lgkmcnt(0)
	v_add_f32_e32 v12, v12, v13
	ds_bpermute_b32 v13, v5, v12
	v_add_lshl_u32 v0, v6, v0, 4
	s_cmp_lt_i32 s8, 1
	s_waitcnt lgkmcnt(0)
	v_add_f32_e32 v7, v12, v13
	v_div_scale_f32 v12, s[0:1], v7, v7, 1.0
	v_rcp_f32_e32 v13, v12
	v_div_scale_f32 v6, vcc, 1.0, v7, 1.0
	v_fma_f32 v14, -v12, v13, 1.0
	v_fmac_f32_e32 v13, v14, v13
	v_mul_f32_e32 v14, v6, v13
	v_fma_f32 v15, -v12, v14, v6
	v_fmac_f32_e32 v14, v15, v13
	v_fma_f32 v6, -v12, v14, v6
	v_div_fmas_f32 v6, v6, v13, v14
	v_div_fixup_f32 v12, v6, v7, 1.0
	v_pk_mul_f32 v[6:7], v[12:13], v[8:9] op_sel_hi:[0,1]
	v_pk_mul_f32 v[8:9], v[12:13], v[10:11] op_sel_hi:[0,1]
	ds_write_b128 v0, v[6:9]
	s_cbranch_scc1 .LBB11_23
; %bb.5:
	s_load_dwordx4 s[4:7], s[6:7], 0x20
	v_lshlrev_b32_e32 v6, 2, v2
	v_cmp_eq_u32_e32 vcc, 0, v2
	v_mul_lo_u32 v7, v1, s8
	v_mov_b32_e32 v8, 0xc61c4000
	s_branch .LBB11_7
.LBB11_6:                               ;   in Loop: Header=BB11_7 Depth=1
	s_or_b64 exec, exec, s[0:1]
	s_cmp_lg_u32 s8, s11
	v_add_u32_e32 v1, s20, v1
	s_cbranch_scc0 .LBB11_23
.LBB11_7:                               ; =>This Inner Loop Header: Depth=1
	ds_read_b128 v[10:13], v0
	s_waitcnt lgkmcnt(0)
	v_cmp_gt_f32_e64 s[0:1], v11, v10
	v_cndmask_b32_e64 v9, v10, v11, s[0:1]
	v_cndmask_b32_e64 v10, 0, 1, s[0:1]
	v_cmp_gt_f32_e64 s[0:1], v12, v9
	v_cndmask_b32_e64 v9, v9, v12, s[0:1]
	v_cndmask_b32_e64 v11, v10, 2, s[0:1]
	;; [unrolled: 3-line block ×3, first 2 shown]
	ds_bpermute_b32 v11, v3, v10
	v_or_b32_e32 v9, v6, v9
	ds_bpermute_b32 v12, v3, v9
	s_waitcnt lgkmcnt(1)
	v_cmp_lt_f32_e64 s[16:17], v10, v11
	v_cmp_nlt_f32_e64 s[0:1], v10, v11
	s_and_saveexec_b64 s[18:19], s[0:1]
	s_cbranch_execz .LBB11_9
; %bb.8:                                ;   in Loop: Header=BB11_7 Depth=1
	v_cmp_eq_f32_e64 s[0:1], v10, v11
	s_waitcnt lgkmcnt(0)
	v_cmp_lt_i32_e64 s[2:3], v12, v9
	s_and_b64 s[0:1], s[0:1], s[2:3]
	s_andn2_b64 s[2:3], s[16:17], exec
	s_and_b64 s[0:1], s[0:1], exec
	s_or_b64 s[16:17], s[2:3], s[0:1]
.LBB11_9:                               ;   in Loop: Header=BB11_7 Depth=1
	s_or_b64 exec, exec, s[18:19]
	s_and_saveexec_b64 s[0:1], s[16:17]
	s_cbranch_execz .LBB11_11
; %bb.10:                               ;   in Loop: Header=BB11_7 Depth=1
	v_mov_b32_e32 v10, v11
	s_waitcnt lgkmcnt(0)
	v_mov_b32_e32 v9, v12
.LBB11_11:                              ;   in Loop: Header=BB11_7 Depth=1
	s_or_b64 exec, exec, s[0:1]
	s_waitcnt lgkmcnt(0)
	ds_bpermute_b32 v12, v4, v10
	ds_bpermute_b32 v11, v4, v9
	s_waitcnt lgkmcnt(1)
	v_cmp_lt_f32_e64 s[16:17], v10, v12
	v_cmp_nlt_f32_e64 s[0:1], v10, v12
	s_and_saveexec_b64 s[18:19], s[0:1]
	s_cbranch_execz .LBB11_13
; %bb.12:                               ;   in Loop: Header=BB11_7 Depth=1
	v_cmp_eq_f32_e64 s[0:1], v10, v12
	s_waitcnt lgkmcnt(0)
	v_cmp_lt_i32_e64 s[2:3], v11, v9
	s_and_b64 s[0:1], s[0:1], s[2:3]
	s_andn2_b64 s[2:3], s[16:17], exec
	s_and_b64 s[0:1], s[0:1], exec
	s_or_b64 s[16:17], s[2:3], s[0:1]
.LBB11_13:                              ;   in Loop: Header=BB11_7 Depth=1
	s_or_b64 exec, exec, s[18:19]
	s_and_saveexec_b64 s[0:1], s[16:17]
	s_cbranch_execz .LBB11_15
; %bb.14:                               ;   in Loop: Header=BB11_7 Depth=1
	v_mov_b32_e32 v10, v12
	s_waitcnt lgkmcnt(0)
	v_mov_b32_e32 v9, v11
.LBB11_15:                              ;   in Loop: Header=BB11_7 Depth=1
	s_or_b64 exec, exec, s[0:1]
	s_waitcnt lgkmcnt(0)
	ds_bpermute_b32 v11, v5, v10
	ds_bpermute_b32 v12, v5, v9
	s_waitcnt lgkmcnt(1)
	v_cmp_lt_f32_e64 s[16:17], v10, v11
	v_cmp_nlt_f32_e64 s[0:1], v10, v11
	s_and_saveexec_b64 s[18:19], s[0:1]
	s_cbranch_execnz .LBB11_21
; %bb.16:                               ;   in Loop: Header=BB11_7 Depth=1
	s_or_b64 exec, exec, s[18:19]
	s_and_saveexec_b64 s[0:1], s[16:17]
	s_cbranch_execnz .LBB11_22
.LBB11_17:                              ;   in Loop: Header=BB11_7 Depth=1
	s_or_b64 exec, exec, s[0:1]
	s_and_saveexec_b64 s[16:17], vcc
	s_cbranch_execz .LBB11_19
.LBB11_18:                              ;   in Loop: Header=BB11_7 Depth=1
	s_waitcnt lgkmcnt(0)
	v_add_u32_e32 v12, s11, v7
	v_ashrrev_i32_e32 v13, 31, v12
	v_cmp_le_i32_e64 s[0:1], s9, v9
	v_cmp_gt_i32_e64 s[2:3], s10, v9
	v_lshlrev_b64 v[12:13], 2, v[12:13]
	s_and_b64 s[2:3], s[0:1], s[2:3]
	v_mov_b32_e32 v11, s13
	v_add_co_u32_e64 v14, s[0:1], s12, v12
	v_addc_co_u32_e64 v15, s[0:1], v11, v13, s[0:1]
	global_store_dword v[14:15], v10, off
	v_subrev_u32_e32 v10, s9, v9
	s_and_b64 s[0:1], s[14:15], s[2:3]
	v_cndmask_b32_e64 v14, 32, v10, s[0:1]
	v_mov_b32_e32 v11, s5
	v_add_co_u32_e64 v10, s[0:1], s4, v12
	v_addc_co_u32_e64 v11, s[0:1], v11, v13, s[0:1]
	global_store_dword v[10:11], v14, off
	v_mov_b32_e32 v11, s7
	v_add_co_u32_e64 v10, s[0:1], s6, v12
	v_addc_co_u32_e64 v11, s[0:1], v11, v13, s[0:1]
	global_store_dword v[10:11], v1, off
.LBB11_19:                              ;   in Loop: Header=BB11_7 Depth=1
	s_or_b64 exec, exec, s[16:17]
	v_ashrrev_i32_e32 v11, 31, v9
	v_lshrrev_b32_e32 v10, 30, v11
	v_add_u32_e32 v10, v9, v10
	v_ashrrev_i32_e32 v10, 2, v10
	s_waitcnt lgkmcnt(0)
	v_lshrrev_b32_e32 v12, 29, v10
	v_add_u32_e32 v12, v10, v12
	s_add_i32 s11, s11, 1
	v_and_b32_e32 v12, -8, v12
	s_cmp_lt_i32 s11, s8
	v_sub_u32_e32 v12, v10, v12
	s_cselect_b64 s[2:3], -1, 0
	v_cmp_eq_u32_e64 s[0:1], v2, v12
	s_and_b64 s[2:3], s[2:3], s[0:1]
	s_and_saveexec_b64 s[0:1], s[2:3]
	s_cbranch_execz .LBB11_6
; %bb.20:                               ;   in Loop: Header=BB11_7 Depth=1
	v_lshrrev_b32_e32 v11, 27, v11
	v_add_u32_e32 v11, v9, v11
	v_lshlrev_b32_e32 v10, 2, v10
	v_ashrrev_i32_e32 v11, 5, v11
	v_sub_u32_e32 v9, v9, v10
	v_lshl_add_u32 v9, v11, 2, v9
	v_lshl_add_u32 v9, v9, 2, v0
	ds_write_b32 v9, v8
	s_branch .LBB11_6
.LBB11_21:                              ;   in Loop: Header=BB11_7 Depth=1
	v_cmp_eq_f32_e64 s[0:1], v10, v11
	s_waitcnt lgkmcnt(0)
	v_cmp_lt_i32_e64 s[2:3], v12, v9
	s_and_b64 s[0:1], s[0:1], s[2:3]
	s_andn2_b64 s[2:3], s[16:17], exec
	s_and_b64 s[0:1], s[0:1], exec
	s_or_b64 s[16:17], s[2:3], s[0:1]
	s_or_b64 exec, exec, s[18:19]
	s_and_saveexec_b64 s[0:1], s[16:17]
	s_cbranch_execz .LBB11_17
.LBB11_22:                              ;   in Loop: Header=BB11_7 Depth=1
	v_mov_b32_e32 v10, v11
	s_waitcnt lgkmcnt(0)
	v_mov_b32_e32 v9, v12
	s_or_b64 exec, exec, s[0:1]
	s_and_saveexec_b64 s[16:17], vcc
	s_cbranch_execnz .LBB11_18
	s_branch .LBB11_19
.LBB11_23:
	s_endpgm
	.section	.rodata,"a",@progbits
	.p2align	6, 0x0
	.amdhsa_kernel _ZN4vllm3moe17topkGatingSoftmaxILi4ELi32ELi4ELi16ELi32EiEEvPKfPKbPfiPT4_Piiii
		.amdhsa_group_segment_fixed_size 2048
		.amdhsa_private_segment_fixed_size 0
		.amdhsa_kernarg_size 60
		.amdhsa_user_sgpr_count 8
		.amdhsa_user_sgpr_private_segment_buffer 1
		.amdhsa_user_sgpr_dispatch_ptr 1
		.amdhsa_user_sgpr_queue_ptr 0
		.amdhsa_user_sgpr_kernarg_segment_ptr 1
		.amdhsa_user_sgpr_dispatch_id 0
		.amdhsa_user_sgpr_flat_scratch_init 0
		.amdhsa_user_sgpr_kernarg_preload_length 0
		.amdhsa_user_sgpr_kernarg_preload_offset 0
		.amdhsa_user_sgpr_private_segment_size 0
		.amdhsa_uses_dynamic_stack 0
		.amdhsa_system_sgpr_private_segment_wavefront_offset 0
		.amdhsa_system_sgpr_workgroup_id_x 1
		.amdhsa_system_sgpr_workgroup_id_y 0
		.amdhsa_system_sgpr_workgroup_id_z 0
		.amdhsa_system_sgpr_workgroup_info 0
		.amdhsa_system_vgpr_workitem_id 2
		.amdhsa_next_free_vgpr 25
		.amdhsa_next_free_sgpr 21
		.amdhsa_accum_offset 28
		.amdhsa_reserve_vcc 1
		.amdhsa_reserve_flat_scratch 0
		.amdhsa_float_round_mode_32 0
		.amdhsa_float_round_mode_16_64 0
		.amdhsa_float_denorm_mode_32 3
		.amdhsa_float_denorm_mode_16_64 3
		.amdhsa_dx10_clamp 1
		.amdhsa_ieee_mode 1
		.amdhsa_fp16_overflow 0
		.amdhsa_tg_split 0
		.amdhsa_exception_fp_ieee_invalid_op 0
		.amdhsa_exception_fp_denorm_src 0
		.amdhsa_exception_fp_ieee_div_zero 0
		.amdhsa_exception_fp_ieee_overflow 0
		.amdhsa_exception_fp_ieee_underflow 0
		.amdhsa_exception_fp_ieee_inexact 0
		.amdhsa_exception_int_div_zero 0
	.end_amdhsa_kernel
	.section	.text._ZN4vllm3moe17topkGatingSoftmaxILi4ELi32ELi4ELi16ELi32EiEEvPKfPKbPfiPT4_Piiii,"axG",@progbits,_ZN4vllm3moe17topkGatingSoftmaxILi4ELi32ELi4ELi16ELi32EiEEvPKfPKbPfiPT4_Piiii,comdat
.Lfunc_end11:
	.size	_ZN4vllm3moe17topkGatingSoftmaxILi4ELi32ELi4ELi16ELi32EiEEvPKfPKbPfiPT4_Piiii, .Lfunc_end11-_ZN4vllm3moe17topkGatingSoftmaxILi4ELi32ELi4ELi16ELi32EiEEvPKfPKbPfiPT4_Piiii
                                        ; -- End function
	.section	.AMDGPU.csdata,"",@progbits
; Kernel info:
; codeLenInByte = 1664
; NumSgprs: 25
; NumVgprs: 25
; NumAgprs: 0
; TotalNumVgprs: 25
; ScratchSize: 0
; MemoryBound: 0
; FloatMode: 240
; IeeeMode: 1
; LDSByteSize: 2048 bytes/workgroup (compile time only)
; SGPRBlocks: 3
; VGPRBlocks: 3
; NumSGPRsForWavesPerEU: 25
; NumVGPRsForWavesPerEU: 25
; AccumOffset: 28
; Occupancy: 8
; WaveLimiterHint : 0
; COMPUTE_PGM_RSRC2:SCRATCH_EN: 0
; COMPUTE_PGM_RSRC2:USER_SGPR: 8
; COMPUTE_PGM_RSRC2:TRAP_HANDLER: 0
; COMPUTE_PGM_RSRC2:TGID_X_EN: 1
; COMPUTE_PGM_RSRC2:TGID_Y_EN: 0
; COMPUTE_PGM_RSRC2:TGID_Z_EN: 0
; COMPUTE_PGM_RSRC2:TIDIG_COMP_CNT: 2
; COMPUTE_PGM_RSRC3_GFX90A:ACCUM_OFFSET: 6
; COMPUTE_PGM_RSRC3_GFX90A:TG_SPLIT: 0
	.section	.text._ZN4vllm3moe17topkGatingSoftmaxILi4ELi64ELi4ELi16ELi64EiEEvPKfPKbPfiPT4_Piiii,"axG",@progbits,_ZN4vllm3moe17topkGatingSoftmaxILi4ELi64ELi4ELi16ELi64EiEEvPKfPKbPfiPT4_Piiii,comdat
	.protected	_ZN4vllm3moe17topkGatingSoftmaxILi4ELi64ELi4ELi16ELi64EiEEvPKfPKbPfiPT4_Piiii ; -- Begin function _ZN4vllm3moe17topkGatingSoftmaxILi4ELi64ELi4ELi16ELi64EiEEvPKfPKbPfiPT4_Piiii
	.globl	_ZN4vllm3moe17topkGatingSoftmaxILi4ELi64ELi4ELi16ELi64EiEEvPKfPKbPfiPT4_Piiii
	.p2align	8
	.type	_ZN4vllm3moe17topkGatingSoftmaxILi4ELi64ELi4ELi16ELi64EiEEvPKfPKbPfiPT4_Piiii,@function
_ZN4vllm3moe17topkGatingSoftmaxILi4ELi64ELi4ELi16ELi64EiEEvPKfPKbPfiPT4_Piiii: ; @_ZN4vllm3moe17topkGatingSoftmaxILi4ELi64ELi4ELi16ELi64EiEEvPKfPKbPfiPT4_Piiii
; %bb.0:
	s_load_dword s20, s[6:7], 0x18
	v_and_b32_e32 v7, 0x3ff, v0
	v_bfe_u32 v8, v0, 10, 10
	s_lshl_b32 s0, s8, 4
	v_lshlrev_b32_e32 v1, 2, v8
	v_lshrrev_b32_e32 v2, 4, v7
	v_add3_u32 v1, s0, v1, v2
	s_waitcnt lgkmcnt(0)
	v_cmp_gt_i32_e32 vcc, s20, v1
	s_and_saveexec_b64 s[0:1], vcc
	s_cbranch_execz .LBB12_27
; %bb.1:
	s_load_dwordx4 s[0:3], s[6:7], 0x0
	s_load_dwordx2 s[12:13], s[6:7], 0x10
	s_waitcnt lgkmcnt(0)
	s_cmp_eq_u64 s[2:3], 0
	s_cbranch_scc1 .LBB12_3
; %bb.2:
	v_ashrrev_i32_e32 v3, 31, v1
	v_mov_b32_e32 v4, s3
	v_add_co_u32_e32 v2, vcc, s2, v1
	v_addc_co_u32_e32 v3, vcc, v4, v3, vcc
	global_load_ubyte v2, v[2:3], off
	s_waitcnt vmcnt(0)
	v_and_b32_e32 v2, 1, v2
	v_cmp_eq_u32_e32 vcc, 1, v2
	s_xor_b64 s[2:3], vcc, -1
	s_orn2_b64 s[14:15], s[2:3], exec
	s_branch .LBB12_4
.LBB12_3:
	s_mov_b64 s[14:15], -1
.LBB12_4:
	v_lshlrev_b32_e32 v2, 6, v1
	v_ashrrev_i32_e32 v3, 31, v2
	v_lshlrev_b64 v[2:3], 2, v[2:3]
	v_mov_b32_e32 v4, s1
	v_add_co_u32_e32 v5, vcc, s0, v2
	v_and_b32_e32 v2, 15, v7
	v_addc_co_u32_e32 v3, vcc, v4, v3, vcc
	v_lshlrev_b32_e32 v4, 4, v2
	v_add_co_u32_e32 v4, vcc, v5, v4
	v_addc_co_u32_e32 v5, vcc, 0, v3, vcc
	global_load_dwordx4 v[10:13], v[4:5], off
	v_mbcnt_lo_u32_b32 v3, -1, 0
	v_mbcnt_hi_u32_b32 v6, -1, v3
	v_and_b32_e32 v3, 0x70, v6
	v_xor_b32_e32 v4, 8, v6
	v_add_u32_e32 v9, 16, v3
	v_cmp_lt_i32_e32 vcc, v4, v9
	v_cndmask_b32_e32 v3, v6, v4, vcc
	v_lshlrev_b32_e32 v3, 2, v3
	v_xor_b32_e32 v16, 1, v6
	s_mov_b32 s0, 0x3fb8aa3b
	s_mov_b32 s1, 0xc2ce8ed0
	;; [unrolled: 1-line block ×3, first 2 shown]
	v_bfe_u32 v0, v0, 20, 10
	s_waitcnt vmcnt(0)
	v_max_f32_e32 v4, v11, v11
	v_max_f32_e32 v5, v10, v10
	;; [unrolled: 1-line block ×3, first 2 shown]
	v_max3_f32 v5, v4, v12, v13
	ds_bpermute_b32 v14, v3, v5
	v_xor_b32_e32 v4, 4, v6
	v_cmp_lt_i32_e32 vcc, v4, v9
	v_cndmask_b32_e32 v4, v6, v4, vcc
	v_lshlrev_b32_e32 v4, 2, v4
	s_waitcnt lgkmcnt(0)
	v_max_f32_e32 v14, v14, v14
	v_max_f32_e32 v14, v5, v14
	ds_bpermute_b32 v15, v4, v14
	v_xor_b32_e32 v5, 2, v6
	v_cmp_lt_i32_e32 vcc, v5, v9
	v_cndmask_b32_e32 v5, v6, v5, vcc
	v_lshlrev_b32_e32 v5, 2, v5
	s_waitcnt lgkmcnt(0)
	v_max_f32_e32 v15, v15, v15
	v_max_f32_e32 v14, v14, v15
	ds_bpermute_b32 v15, v5, v14
	v_cmp_lt_i32_e32 vcc, v16, v9
	v_cndmask_b32_e32 v6, v6, v16, vcc
	v_lshlrev_b32_e32 v6, 2, v6
	s_waitcnt lgkmcnt(0)
	v_max_f32_e32 v9, v15, v15
	v_max_f32_e32 v9, v14, v9
	ds_bpermute_b32 v14, v6, v9
	v_mov_b32_e32 v15, 0x7f800000
	s_waitcnt lgkmcnt(0)
	v_max_f32_e32 v14, v14, v14
	v_max_f32_e32 v14, v9, v14
	v_pk_add_f32 v[12:13], v[12:13], v[14:15] op_sel_hi:[1,0] neg_lo:[0,1] neg_hi:[0,1]
	v_mul_f32_e32 v9, 0x3fb8aa3b, v13
	v_pk_add_f32 v[10:11], v[10:11], v[14:15] op_sel_hi:[1,0] neg_lo:[0,1] neg_hi:[0,1]
	v_mul_f32_e32 v14, 0x3fb8aa3b, v12
	v_fma_f32 v18, v13, s0, -v9
	v_rndne_f32_e32 v19, v9
	v_mul_f32_e32 v16, 0x3fb8aa3b, v11
	v_fma_f32 v20, v12, s0, -v14
	v_rndne_f32_e32 v21, v14
	v_fmac_f32_e32 v18, 0x32a5705f, v13
	v_sub_f32_e32 v9, v9, v19
	v_mul_f32_e32 v17, 0x3fb8aa3b, v10
	v_fma_f32 v22, v11, s0, -v16
	v_rndne_f32_e32 v23, v16
	v_fmac_f32_e32 v20, 0x32a5705f, v12
	v_sub_f32_e32 v14, v14, v21
	v_add_f32_e32 v9, v9, v18
	v_fma_f32 v24, v10, s0, -v17
	v_rndne_f32_e32 v25, v17
	v_cvt_i32_f32_e32 v19, v19
	v_fmac_f32_e32 v22, 0x32a5705f, v11
	v_sub_f32_e32 v16, v16, v23
	v_add_f32_e32 v14, v14, v20
	v_exp_f32_e32 v9, v9
	v_cvt_i32_f32_e32 v21, v21
	v_fmac_f32_e32 v24, 0x32a5705f, v10
	v_sub_f32_e32 v17, v17, v25
	v_add_f32_e32 v16, v16, v22
	v_exp_f32_e32 v14, v14
	v_cvt_i32_f32_e32 v23, v23
	v_add_f32_e32 v17, v17, v24
	v_exp_f32_e32 v16, v16
	v_cvt_i32_f32_e32 v25, v25
	v_exp_f32_e32 v17, v17
	v_ldexp_f32 v9, v9, v19
	v_cmp_ngt_f32_e32 vcc, s1, v13
	v_ldexp_f32 v14, v14, v21
	v_cndmask_b32_e32 v9, 0, v9, vcc
	v_cmp_ngt_f32_e32 vcc, s1, v12
	v_ldexp_f32 v16, v16, v23
	v_cndmask_b32_e32 v14, 0, v14, vcc
	v_cmp_ngt_f32_e32 vcc, s1, v11
	v_ldexp_f32 v17, v17, v25
	v_cndmask_b32_e32 v16, 0, v16, vcc
	v_cmp_ngt_f32_e32 vcc, s1, v10
	v_cndmask_b32_e32 v17, 0, v17, vcc
	v_cmp_nlt_f32_e32 vcc, s2, v13
	v_cndmask_b32_e32 v13, v15, v9, vcc
	v_cmp_nlt_f32_e32 vcc, s2, v12
	;; [unrolled: 2-line block ×4, first 2 shown]
	v_cndmask_b32_e32 v10, v15, v17, vcc
	v_add_f32_e32 v9, v10, v11
	v_add_f32_e32 v9, v9, v12
	;; [unrolled: 1-line block ×3, first 2 shown]
	ds_bpermute_b32 v14, v3, v9
	s_load_dwordx4 s[8:11], s[6:7], 0x30
	s_load_dwordx2 s[0:1], s[4:5], 0x4
	s_waitcnt lgkmcnt(0)
	s_mov_b32 s11, 0
	v_add_f32_e32 v9, v9, v14
	ds_bpermute_b32 v14, v4, v9
	s_lshr_b32 s0, s0, 16
	s_mul_i32 s0, s0, s1
	v_mul_lo_u32 v7, s0, v7
	v_mad_u32_u24 v7, v8, s1, v7
	s_waitcnt lgkmcnt(0)
	v_add_f32_e32 v9, v9, v14
	ds_bpermute_b32 v14, v5, v9
	v_add_lshl_u32 v0, v7, v0, 4
	s_cmp_lt_i32 s8, 1
	s_waitcnt lgkmcnt(0)
	v_add_f32_e32 v9, v9, v14
	ds_bpermute_b32 v14, v6, v9
	s_waitcnt lgkmcnt(0)
	v_add_f32_e32 v8, v9, v14
	v_div_scale_f32 v9, s[0:1], v8, v8, 1.0
	v_rcp_f32_e32 v14, v9
	v_div_scale_f32 v7, vcc, 1.0, v8, 1.0
	v_fma_f32 v15, -v9, v14, 1.0
	v_fmac_f32_e32 v14, v15, v14
	v_mul_f32_e32 v15, v7, v14
	v_fma_f32 v16, -v9, v15, v7
	v_fmac_f32_e32 v15, v16, v14
	v_fma_f32 v7, -v9, v15, v7
	v_div_fmas_f32 v7, v7, v14, v15
	v_div_fixup_f32 v14, v7, v8, 1.0
	v_pk_mul_f32 v[8:9], v[14:15], v[10:11] op_sel_hi:[0,1]
	v_pk_mul_f32 v[10:11], v[14:15], v[12:13] op_sel_hi:[0,1]
	ds_write_b128 v0, v[8:11]
	s_cbranch_scc1 .LBB12_27
; %bb.5:
	s_load_dwordx4 s[4:7], s[6:7], 0x20
	v_lshlrev_b32_e32 v7, 2, v2
	v_cmp_eq_u32_e32 vcc, 0, v2
	v_mul_lo_u32 v8, v1, s8
	v_mov_b32_e32 v9, 0xc61c4000
	s_branch .LBB12_7
.LBB12_6:                               ;   in Loop: Header=BB12_7 Depth=1
	s_or_b64 exec, exec, s[0:1]
	s_cmp_lg_u32 s8, s11
	v_add_u32_e32 v1, s20, v1
	s_cbranch_scc0 .LBB12_27
.LBB12_7:                               ; =>This Inner Loop Header: Depth=1
	ds_read_b128 v[10:13], v0
	s_waitcnt lgkmcnt(0)
	v_cmp_gt_f32_e64 s[0:1], v11, v10
	v_cndmask_b32_e64 v10, v10, v11, s[0:1]
	v_cndmask_b32_e64 v11, 0, 1, s[0:1]
	v_cmp_gt_f32_e64 s[0:1], v12, v10
	v_cndmask_b32_e64 v10, v10, v12, s[0:1]
	v_cndmask_b32_e64 v12, v11, 2, s[0:1]
	;; [unrolled: 3-line block ×3, first 2 shown]
	ds_bpermute_b32 v12, v3, v11
	v_or_b32_e32 v10, v7, v10
	ds_bpermute_b32 v13, v3, v10
	s_waitcnt lgkmcnt(1)
	v_cmp_lt_f32_e64 s[16:17], v11, v12
	v_cmp_nlt_f32_e64 s[0:1], v11, v12
	s_and_saveexec_b64 s[18:19], s[0:1]
	s_cbranch_execz .LBB12_9
; %bb.8:                                ;   in Loop: Header=BB12_7 Depth=1
	v_cmp_eq_f32_e64 s[0:1], v11, v12
	s_waitcnt lgkmcnt(0)
	v_cmp_lt_i32_e64 s[2:3], v13, v10
	s_and_b64 s[0:1], s[0:1], s[2:3]
	s_andn2_b64 s[2:3], s[16:17], exec
	s_and_b64 s[0:1], s[0:1], exec
	s_or_b64 s[16:17], s[2:3], s[0:1]
.LBB12_9:                               ;   in Loop: Header=BB12_7 Depth=1
	s_or_b64 exec, exec, s[18:19]
	s_and_saveexec_b64 s[0:1], s[16:17]
	s_cbranch_execz .LBB12_11
; %bb.10:                               ;   in Loop: Header=BB12_7 Depth=1
	v_mov_b32_e32 v11, v12
	s_waitcnt lgkmcnt(0)
	v_mov_b32_e32 v10, v13
.LBB12_11:                              ;   in Loop: Header=BB12_7 Depth=1
	s_or_b64 exec, exec, s[0:1]
	s_waitcnt lgkmcnt(0)
	ds_bpermute_b32 v13, v4, v11
	ds_bpermute_b32 v12, v4, v10
	s_waitcnt lgkmcnt(1)
	v_cmp_lt_f32_e64 s[16:17], v11, v13
	v_cmp_nlt_f32_e64 s[0:1], v11, v13
	s_and_saveexec_b64 s[18:19], s[0:1]
	s_cbranch_execz .LBB12_13
; %bb.12:                               ;   in Loop: Header=BB12_7 Depth=1
	v_cmp_eq_f32_e64 s[0:1], v11, v13
	s_waitcnt lgkmcnt(0)
	v_cmp_lt_i32_e64 s[2:3], v12, v10
	s_and_b64 s[0:1], s[0:1], s[2:3]
	s_andn2_b64 s[2:3], s[16:17], exec
	s_and_b64 s[0:1], s[0:1], exec
	s_or_b64 s[16:17], s[2:3], s[0:1]
.LBB12_13:                              ;   in Loop: Header=BB12_7 Depth=1
	s_or_b64 exec, exec, s[18:19]
	s_and_saveexec_b64 s[0:1], s[16:17]
	s_cbranch_execz .LBB12_15
; %bb.14:                               ;   in Loop: Header=BB12_7 Depth=1
	v_mov_b32_e32 v11, v13
	s_waitcnt lgkmcnt(0)
	v_mov_b32_e32 v10, v12
.LBB12_15:                              ;   in Loop: Header=BB12_7 Depth=1
	s_or_b64 exec, exec, s[0:1]
	ds_bpermute_b32 v13, v5, v11
	s_waitcnt lgkmcnt(1)
	ds_bpermute_b32 v12, v5, v10
	s_waitcnt lgkmcnt(1)
	v_cmp_lt_f32_e64 s[16:17], v11, v13
	v_cmp_nlt_f32_e64 s[0:1], v11, v13
	s_and_saveexec_b64 s[18:19], s[0:1]
	s_cbranch_execz .LBB12_17
; %bb.16:                               ;   in Loop: Header=BB12_7 Depth=1
	v_cmp_eq_f32_e64 s[0:1], v11, v13
	s_waitcnt lgkmcnt(0)
	v_cmp_lt_i32_e64 s[2:3], v12, v10
	s_and_b64 s[0:1], s[0:1], s[2:3]
	s_andn2_b64 s[2:3], s[16:17], exec
	s_and_b64 s[0:1], s[0:1], exec
	s_or_b64 s[16:17], s[2:3], s[0:1]
.LBB12_17:                              ;   in Loop: Header=BB12_7 Depth=1
	s_or_b64 exec, exec, s[18:19]
	s_and_saveexec_b64 s[0:1], s[16:17]
	s_cbranch_execz .LBB12_19
; %bb.18:                               ;   in Loop: Header=BB12_7 Depth=1
	v_mov_b32_e32 v11, v13
	s_waitcnt lgkmcnt(0)
	v_mov_b32_e32 v10, v12
.LBB12_19:                              ;   in Loop: Header=BB12_7 Depth=1
	s_or_b64 exec, exec, s[0:1]
	s_waitcnt lgkmcnt(0)
	ds_bpermute_b32 v12, v6, v11
	ds_bpermute_b32 v13, v6, v10
	s_waitcnt lgkmcnt(1)
	v_cmp_lt_f32_e64 s[16:17], v11, v12
	v_cmp_nlt_f32_e64 s[0:1], v11, v12
	s_and_saveexec_b64 s[18:19], s[0:1]
	s_cbranch_execnz .LBB12_25
; %bb.20:                               ;   in Loop: Header=BB12_7 Depth=1
	s_or_b64 exec, exec, s[18:19]
	s_and_saveexec_b64 s[0:1], s[16:17]
	s_cbranch_execnz .LBB12_26
.LBB12_21:                              ;   in Loop: Header=BB12_7 Depth=1
	s_or_b64 exec, exec, s[0:1]
	s_and_saveexec_b64 s[16:17], vcc
	s_cbranch_execz .LBB12_23
.LBB12_22:                              ;   in Loop: Header=BB12_7 Depth=1
	v_add_u32_e32 v12, s11, v8
	s_waitcnt lgkmcnt(0)
	v_ashrrev_i32_e32 v13, 31, v12
	v_cmp_le_i32_e64 s[0:1], s9, v10
	v_cmp_gt_i32_e64 s[2:3], s10, v10
	v_lshlrev_b64 v[12:13], 2, v[12:13]
	s_and_b64 s[2:3], s[0:1], s[2:3]
	v_mov_b32_e32 v15, s13
	v_add_co_u32_e64 v14, s[0:1], s12, v12
	v_addc_co_u32_e64 v15, s[0:1], v15, v13, s[0:1]
	global_store_dword v[14:15], v11, off
	v_subrev_u32_e32 v11, s9, v10
	s_and_b64 s[0:1], s[14:15], s[2:3]
	v_cndmask_b32_e64 v11, 64, v11, s[0:1]
	v_mov_b32_e32 v15, s5
	v_add_co_u32_e64 v14, s[0:1], s4, v12
	v_addc_co_u32_e64 v15, s[0:1], v15, v13, s[0:1]
	global_store_dword v[14:15], v11, off
	v_mov_b32_e32 v11, s7
	v_add_co_u32_e64 v12, s[0:1], s6, v12
	v_addc_co_u32_e64 v13, s[0:1], v11, v13, s[0:1]
	global_store_dword v[12:13], v1, off
.LBB12_23:                              ;   in Loop: Header=BB12_7 Depth=1
	s_or_b64 exec, exec, s[16:17]
	v_ashrrev_i32_e32 v12, 31, v10
	v_lshrrev_b32_e32 v11, 30, v12
	s_waitcnt lgkmcnt(0)
	v_add_u32_e32 v13, v10, v11
	v_ashrrev_i32_e32 v11, 2, v13
	v_ashrrev_i32_e32 v13, 31, v13
	v_lshrrev_b32_e32 v13, 28, v13
	v_add_u32_e32 v13, v11, v13
	s_add_i32 s11, s11, 1
	v_and_b32_e32 v13, -16, v13
	s_cmp_lt_i32 s11, s8
	v_sub_u32_e32 v13, v11, v13
	s_cselect_b64 s[2:3], -1, 0
	v_cmp_eq_u32_e64 s[0:1], v2, v13
	s_and_b64 s[2:3], s[2:3], s[0:1]
	s_and_saveexec_b64 s[0:1], s[2:3]
	s_cbranch_execz .LBB12_6
; %bb.24:                               ;   in Loop: Header=BB12_7 Depth=1
	v_lshrrev_b32_e32 v12, 26, v12
	v_add_u32_e32 v12, v10, v12
	v_lshlrev_b32_e32 v11, 2, v11
	v_ashrrev_i32_e32 v12, 6, v12
	v_sub_u32_e32 v10, v10, v11
	v_lshl_add_u32 v10, v12, 2, v10
	v_lshl_add_u32 v10, v10, 2, v0
	ds_write_b32 v10, v9
	s_branch .LBB12_6
.LBB12_25:                              ;   in Loop: Header=BB12_7 Depth=1
	v_cmp_eq_f32_e64 s[0:1], v11, v12
	s_waitcnt lgkmcnt(0)
	v_cmp_lt_i32_e64 s[2:3], v13, v10
	s_and_b64 s[0:1], s[0:1], s[2:3]
	s_andn2_b64 s[2:3], s[16:17], exec
	s_and_b64 s[0:1], s[0:1], exec
	s_or_b64 s[16:17], s[2:3], s[0:1]
	s_or_b64 exec, exec, s[18:19]
	s_and_saveexec_b64 s[0:1], s[16:17]
	s_cbranch_execz .LBB12_21
.LBB12_26:                              ;   in Loop: Header=BB12_7 Depth=1
	v_mov_b32_e32 v11, v12
	s_waitcnt lgkmcnt(0)
	v_mov_b32_e32 v10, v13
	s_or_b64 exec, exec, s[0:1]
	s_and_saveexec_b64 s[16:17], vcc
	s_cbranch_execnz .LBB12_22
	s_branch .LBB12_23
.LBB12_27:
	s_endpgm
	.section	.rodata,"a",@progbits
	.p2align	6, 0x0
	.amdhsa_kernel _ZN4vllm3moe17topkGatingSoftmaxILi4ELi64ELi4ELi16ELi64EiEEvPKfPKbPfiPT4_Piiii
		.amdhsa_group_segment_fixed_size 4096
		.amdhsa_private_segment_fixed_size 0
		.amdhsa_kernarg_size 60
		.amdhsa_user_sgpr_count 8
		.amdhsa_user_sgpr_private_segment_buffer 1
		.amdhsa_user_sgpr_dispatch_ptr 1
		.amdhsa_user_sgpr_queue_ptr 0
		.amdhsa_user_sgpr_kernarg_segment_ptr 1
		.amdhsa_user_sgpr_dispatch_id 0
		.amdhsa_user_sgpr_flat_scratch_init 0
		.amdhsa_user_sgpr_kernarg_preload_length 0
		.amdhsa_user_sgpr_kernarg_preload_offset 0
		.amdhsa_user_sgpr_private_segment_size 0
		.amdhsa_uses_dynamic_stack 0
		.amdhsa_system_sgpr_private_segment_wavefront_offset 0
		.amdhsa_system_sgpr_workgroup_id_x 1
		.amdhsa_system_sgpr_workgroup_id_y 0
		.amdhsa_system_sgpr_workgroup_id_z 0
		.amdhsa_system_sgpr_workgroup_info 0
		.amdhsa_system_vgpr_workitem_id 2
		.amdhsa_next_free_vgpr 26
		.amdhsa_next_free_sgpr 21
		.amdhsa_accum_offset 28
		.amdhsa_reserve_vcc 1
		.amdhsa_reserve_flat_scratch 0
		.amdhsa_float_round_mode_32 0
		.amdhsa_float_round_mode_16_64 0
		.amdhsa_float_denorm_mode_32 3
		.amdhsa_float_denorm_mode_16_64 3
		.amdhsa_dx10_clamp 1
		.amdhsa_ieee_mode 1
		.amdhsa_fp16_overflow 0
		.amdhsa_tg_split 0
		.amdhsa_exception_fp_ieee_invalid_op 0
		.amdhsa_exception_fp_denorm_src 0
		.amdhsa_exception_fp_ieee_div_zero 0
		.amdhsa_exception_fp_ieee_overflow 0
		.amdhsa_exception_fp_ieee_underflow 0
		.amdhsa_exception_fp_ieee_inexact 0
		.amdhsa_exception_int_div_zero 0
	.end_amdhsa_kernel
	.section	.text._ZN4vllm3moe17topkGatingSoftmaxILi4ELi64ELi4ELi16ELi64EiEEvPKfPKbPfiPT4_Piiii,"axG",@progbits,_ZN4vllm3moe17topkGatingSoftmaxILi4ELi64ELi4ELi16ELi64EiEEvPKfPKbPfiPT4_Piiii,comdat
.Lfunc_end12:
	.size	_ZN4vllm3moe17topkGatingSoftmaxILi4ELi64ELi4ELi16ELi64EiEEvPKfPKbPfiPT4_Piiii, .Lfunc_end12-_ZN4vllm3moe17topkGatingSoftmaxILi4ELi64ELi4ELi16ELi64EiEEvPKfPKbPfiPT4_Piiii
                                        ; -- End function
	.section	.AMDGPU.csdata,"",@progbits
; Kernel info:
; codeLenInByte = 1836
; NumSgprs: 25
; NumVgprs: 26
; NumAgprs: 0
; TotalNumVgprs: 26
; ScratchSize: 0
; MemoryBound: 0
; FloatMode: 240
; IeeeMode: 1
; LDSByteSize: 4096 bytes/workgroup (compile time only)
; SGPRBlocks: 3
; VGPRBlocks: 3
; NumSGPRsForWavesPerEU: 25
; NumVGPRsForWavesPerEU: 26
; AccumOffset: 28
; Occupancy: 8
; WaveLimiterHint : 0
; COMPUTE_PGM_RSRC2:SCRATCH_EN: 0
; COMPUTE_PGM_RSRC2:USER_SGPR: 8
; COMPUTE_PGM_RSRC2:TRAP_HANDLER: 0
; COMPUTE_PGM_RSRC2:TGID_X_EN: 1
; COMPUTE_PGM_RSRC2:TGID_Y_EN: 0
; COMPUTE_PGM_RSRC2:TGID_Z_EN: 0
; COMPUTE_PGM_RSRC2:TIDIG_COMP_CNT: 2
; COMPUTE_PGM_RSRC3_GFX90A:ACCUM_OFFSET: 6
; COMPUTE_PGM_RSRC3_GFX90A:TG_SPLIT: 0
	.section	.text._ZN4vllm3moe17topkGatingSoftmaxILi4ELi64ELi4ELi16ELi32EiEEvPKfPKbPfiPT4_Piiii,"axG",@progbits,_ZN4vllm3moe17topkGatingSoftmaxILi4ELi64ELi4ELi16ELi32EiEEvPKfPKbPfiPT4_Piiii,comdat
	.protected	_ZN4vllm3moe17topkGatingSoftmaxILi4ELi64ELi4ELi16ELi32EiEEvPKfPKbPfiPT4_Piiii ; -- Begin function _ZN4vllm3moe17topkGatingSoftmaxILi4ELi64ELi4ELi16ELi32EiEEvPKfPKbPfiPT4_Piiii
	.globl	_ZN4vllm3moe17topkGatingSoftmaxILi4ELi64ELi4ELi16ELi32EiEEvPKfPKbPfiPT4_Piiii
	.p2align	8
	.type	_ZN4vllm3moe17topkGatingSoftmaxILi4ELi64ELi4ELi16ELi32EiEEvPKfPKbPfiPT4_Piiii,@function
_ZN4vllm3moe17topkGatingSoftmaxILi4ELi64ELi4ELi16ELi32EiEEvPKfPKbPfiPT4_Piiii: ; @_ZN4vllm3moe17topkGatingSoftmaxILi4ELi64ELi4ELi16ELi32EiEEvPKfPKbPfiPT4_Piiii
; %bb.0:
	s_load_dword s20, s[6:7], 0x18
	v_and_b32_e32 v7, 0x3ff, v0
	v_bfe_u32 v8, v0, 10, 10
	s_lshl_b32 s0, s8, 3
	v_lshlrev_b32_e32 v1, 1, v8
	v_lshrrev_b32_e32 v2, 4, v7
	v_add3_u32 v1, s0, v1, v2
	s_waitcnt lgkmcnt(0)
	v_cmp_gt_i32_e32 vcc, s20, v1
	s_and_saveexec_b64 s[0:1], vcc
	s_cbranch_execz .LBB13_27
; %bb.1:
	s_load_dwordx4 s[0:3], s[6:7], 0x0
	s_load_dwordx2 s[12:13], s[6:7], 0x10
	s_waitcnt lgkmcnt(0)
	s_cmp_eq_u64 s[2:3], 0
	s_cbranch_scc1 .LBB13_3
; %bb.2:
	v_ashrrev_i32_e32 v3, 31, v1
	v_mov_b32_e32 v4, s3
	v_add_co_u32_e32 v2, vcc, s2, v1
	v_addc_co_u32_e32 v3, vcc, v4, v3, vcc
	global_load_ubyte v2, v[2:3], off
	s_waitcnt vmcnt(0)
	v_and_b32_e32 v2, 1, v2
	v_cmp_eq_u32_e32 vcc, 1, v2
	s_xor_b64 s[2:3], vcc, -1
	s_orn2_b64 s[14:15], s[2:3], exec
	s_branch .LBB13_4
.LBB13_3:
	s_mov_b64 s[14:15], -1
.LBB13_4:
	v_lshlrev_b32_e32 v2, 6, v1
	v_ashrrev_i32_e32 v3, 31, v2
	v_lshlrev_b64 v[2:3], 2, v[2:3]
	v_mov_b32_e32 v4, s1
	v_add_co_u32_e32 v5, vcc, s0, v2
	v_and_b32_e32 v2, 15, v7
	v_addc_co_u32_e32 v3, vcc, v4, v3, vcc
	v_lshlrev_b32_e32 v4, 4, v2
	v_add_co_u32_e32 v4, vcc, v5, v4
	v_addc_co_u32_e32 v5, vcc, 0, v3, vcc
	global_load_dwordx4 v[10:13], v[4:5], off
	v_mbcnt_lo_u32_b32 v3, -1, 0
	v_mbcnt_hi_u32_b32 v6, -1, v3
	v_and_b32_e32 v3, 0x70, v6
	v_xor_b32_e32 v4, 8, v6
	v_add_u32_e32 v9, 16, v3
	v_cmp_lt_i32_e32 vcc, v4, v9
	v_cndmask_b32_e32 v3, v6, v4, vcc
	v_lshlrev_b32_e32 v3, 2, v3
	v_xor_b32_e32 v16, 1, v6
	s_mov_b32 s0, 0x3fb8aa3b
	s_mov_b32 s1, 0xc2ce8ed0
	;; [unrolled: 1-line block ×3, first 2 shown]
	v_bfe_u32 v0, v0, 20, 10
	s_waitcnt vmcnt(0)
	v_max_f32_e32 v4, v11, v11
	v_max_f32_e32 v5, v10, v10
	;; [unrolled: 1-line block ×3, first 2 shown]
	v_max3_f32 v5, v4, v12, v13
	ds_bpermute_b32 v14, v3, v5
	v_xor_b32_e32 v4, 4, v6
	v_cmp_lt_i32_e32 vcc, v4, v9
	v_cndmask_b32_e32 v4, v6, v4, vcc
	v_lshlrev_b32_e32 v4, 2, v4
	s_waitcnt lgkmcnt(0)
	v_max_f32_e32 v14, v14, v14
	v_max_f32_e32 v14, v5, v14
	ds_bpermute_b32 v15, v4, v14
	v_xor_b32_e32 v5, 2, v6
	v_cmp_lt_i32_e32 vcc, v5, v9
	v_cndmask_b32_e32 v5, v6, v5, vcc
	v_lshlrev_b32_e32 v5, 2, v5
	s_waitcnt lgkmcnt(0)
	v_max_f32_e32 v15, v15, v15
	v_max_f32_e32 v14, v14, v15
	ds_bpermute_b32 v15, v5, v14
	v_cmp_lt_i32_e32 vcc, v16, v9
	v_cndmask_b32_e32 v6, v6, v16, vcc
	v_lshlrev_b32_e32 v6, 2, v6
	s_waitcnt lgkmcnt(0)
	v_max_f32_e32 v9, v15, v15
	v_max_f32_e32 v9, v14, v9
	ds_bpermute_b32 v14, v6, v9
	v_mov_b32_e32 v15, 0x7f800000
	s_waitcnt lgkmcnt(0)
	v_max_f32_e32 v14, v14, v14
	v_max_f32_e32 v14, v9, v14
	v_pk_add_f32 v[12:13], v[12:13], v[14:15] op_sel_hi:[1,0] neg_lo:[0,1] neg_hi:[0,1]
	v_mul_f32_e32 v9, 0x3fb8aa3b, v13
	v_pk_add_f32 v[10:11], v[10:11], v[14:15] op_sel_hi:[1,0] neg_lo:[0,1] neg_hi:[0,1]
	v_mul_f32_e32 v14, 0x3fb8aa3b, v12
	v_fma_f32 v18, v13, s0, -v9
	v_rndne_f32_e32 v19, v9
	v_mul_f32_e32 v16, 0x3fb8aa3b, v11
	v_fma_f32 v20, v12, s0, -v14
	v_rndne_f32_e32 v21, v14
	v_fmac_f32_e32 v18, 0x32a5705f, v13
	v_sub_f32_e32 v9, v9, v19
	v_mul_f32_e32 v17, 0x3fb8aa3b, v10
	v_fma_f32 v22, v11, s0, -v16
	v_rndne_f32_e32 v23, v16
	v_fmac_f32_e32 v20, 0x32a5705f, v12
	v_sub_f32_e32 v14, v14, v21
	v_add_f32_e32 v9, v9, v18
	v_fma_f32 v24, v10, s0, -v17
	v_rndne_f32_e32 v25, v17
	v_cvt_i32_f32_e32 v19, v19
	v_fmac_f32_e32 v22, 0x32a5705f, v11
	v_sub_f32_e32 v16, v16, v23
	v_add_f32_e32 v14, v14, v20
	v_exp_f32_e32 v9, v9
	v_cvt_i32_f32_e32 v21, v21
	v_fmac_f32_e32 v24, 0x32a5705f, v10
	v_sub_f32_e32 v17, v17, v25
	v_add_f32_e32 v16, v16, v22
	v_exp_f32_e32 v14, v14
	v_cvt_i32_f32_e32 v23, v23
	v_add_f32_e32 v17, v17, v24
	v_exp_f32_e32 v16, v16
	v_cvt_i32_f32_e32 v25, v25
	v_exp_f32_e32 v17, v17
	v_ldexp_f32 v9, v9, v19
	v_cmp_ngt_f32_e32 vcc, s1, v13
	v_ldexp_f32 v14, v14, v21
	v_cndmask_b32_e32 v9, 0, v9, vcc
	v_cmp_ngt_f32_e32 vcc, s1, v12
	v_ldexp_f32 v16, v16, v23
	v_cndmask_b32_e32 v14, 0, v14, vcc
	;; [unrolled: 3-line block ×3, first 2 shown]
	v_cmp_ngt_f32_e32 vcc, s1, v10
	v_cndmask_b32_e32 v17, 0, v17, vcc
	v_cmp_nlt_f32_e32 vcc, s2, v13
	v_cndmask_b32_e32 v13, v15, v9, vcc
	v_cmp_nlt_f32_e32 vcc, s2, v12
	;; [unrolled: 2-line block ×4, first 2 shown]
	v_cndmask_b32_e32 v10, v15, v17, vcc
	v_add_f32_e32 v9, v10, v11
	v_add_f32_e32 v9, v9, v12
	;; [unrolled: 1-line block ×3, first 2 shown]
	ds_bpermute_b32 v14, v3, v9
	s_load_dwordx4 s[8:11], s[6:7], 0x30
	s_load_dwordx2 s[0:1], s[4:5], 0x4
	s_waitcnt lgkmcnt(0)
	s_mov_b32 s11, 0
	v_add_f32_e32 v9, v9, v14
	ds_bpermute_b32 v14, v4, v9
	s_lshr_b32 s0, s0, 16
	v_mul_u32_u24_e32 v8, s1, v8
	s_mul_i32 s0, s0, s1
	v_mad_u32_u24 v7, s0, v7, v8
	s_waitcnt lgkmcnt(0)
	v_add_f32_e32 v9, v9, v14
	ds_bpermute_b32 v14, v5, v9
	v_add_lshl_u32 v0, v7, v0, 4
	s_cmp_lt_i32 s8, 1
	s_waitcnt lgkmcnt(0)
	v_add_f32_e32 v9, v9, v14
	ds_bpermute_b32 v14, v6, v9
	s_waitcnt lgkmcnt(0)
	v_add_f32_e32 v8, v9, v14
	v_div_scale_f32 v9, s[0:1], v8, v8, 1.0
	v_rcp_f32_e32 v14, v9
	v_div_scale_f32 v7, vcc, 1.0, v8, 1.0
	v_fma_f32 v15, -v9, v14, 1.0
	v_fmac_f32_e32 v14, v15, v14
	v_mul_f32_e32 v15, v7, v14
	v_fma_f32 v16, -v9, v15, v7
	v_fmac_f32_e32 v15, v16, v14
	v_fma_f32 v7, -v9, v15, v7
	v_div_fmas_f32 v7, v7, v14, v15
	v_div_fixup_f32 v14, v7, v8, 1.0
	v_pk_mul_f32 v[8:9], v[14:15], v[10:11] op_sel_hi:[0,1]
	v_pk_mul_f32 v[10:11], v[14:15], v[12:13] op_sel_hi:[0,1]
	ds_write_b128 v0, v[8:11]
	s_cbranch_scc1 .LBB13_27
; %bb.5:
	s_load_dwordx4 s[4:7], s[6:7], 0x20
	v_lshlrev_b32_e32 v7, 2, v2
	v_cmp_eq_u32_e32 vcc, 0, v2
	v_mul_lo_u32 v8, v1, s8
	v_mov_b32_e32 v9, 0xc61c4000
	s_branch .LBB13_7
.LBB13_6:                               ;   in Loop: Header=BB13_7 Depth=1
	s_or_b64 exec, exec, s[0:1]
	s_cmp_lg_u32 s8, s11
	v_add_u32_e32 v1, s20, v1
	s_cbranch_scc0 .LBB13_27
.LBB13_7:                               ; =>This Inner Loop Header: Depth=1
	ds_read_b128 v[10:13], v0
	s_waitcnt lgkmcnt(0)
	v_cmp_gt_f32_e64 s[0:1], v11, v10
	v_cndmask_b32_e64 v10, v10, v11, s[0:1]
	v_cndmask_b32_e64 v11, 0, 1, s[0:1]
	v_cmp_gt_f32_e64 s[0:1], v12, v10
	v_cndmask_b32_e64 v10, v10, v12, s[0:1]
	v_cndmask_b32_e64 v12, v11, 2, s[0:1]
	;; [unrolled: 3-line block ×3, first 2 shown]
	ds_bpermute_b32 v12, v3, v11
	v_or_b32_e32 v10, v7, v10
	ds_bpermute_b32 v13, v3, v10
	s_waitcnt lgkmcnt(1)
	v_cmp_lt_f32_e64 s[16:17], v11, v12
	v_cmp_nlt_f32_e64 s[0:1], v11, v12
	s_and_saveexec_b64 s[18:19], s[0:1]
	s_cbranch_execz .LBB13_9
; %bb.8:                                ;   in Loop: Header=BB13_7 Depth=1
	v_cmp_eq_f32_e64 s[0:1], v11, v12
	s_waitcnt lgkmcnt(0)
	v_cmp_lt_i32_e64 s[2:3], v13, v10
	s_and_b64 s[0:1], s[0:1], s[2:3]
	s_andn2_b64 s[2:3], s[16:17], exec
	s_and_b64 s[0:1], s[0:1], exec
	s_or_b64 s[16:17], s[2:3], s[0:1]
.LBB13_9:                               ;   in Loop: Header=BB13_7 Depth=1
	s_or_b64 exec, exec, s[18:19]
	s_and_saveexec_b64 s[0:1], s[16:17]
	s_cbranch_execz .LBB13_11
; %bb.10:                               ;   in Loop: Header=BB13_7 Depth=1
	v_mov_b32_e32 v11, v12
	s_waitcnt lgkmcnt(0)
	v_mov_b32_e32 v10, v13
.LBB13_11:                              ;   in Loop: Header=BB13_7 Depth=1
	s_or_b64 exec, exec, s[0:1]
	s_waitcnt lgkmcnt(0)
	ds_bpermute_b32 v13, v4, v11
	ds_bpermute_b32 v12, v4, v10
	s_waitcnt lgkmcnt(1)
	v_cmp_lt_f32_e64 s[16:17], v11, v13
	v_cmp_nlt_f32_e64 s[0:1], v11, v13
	s_and_saveexec_b64 s[18:19], s[0:1]
	s_cbranch_execz .LBB13_13
; %bb.12:                               ;   in Loop: Header=BB13_7 Depth=1
	v_cmp_eq_f32_e64 s[0:1], v11, v13
	s_waitcnt lgkmcnt(0)
	v_cmp_lt_i32_e64 s[2:3], v12, v10
	s_and_b64 s[0:1], s[0:1], s[2:3]
	s_andn2_b64 s[2:3], s[16:17], exec
	s_and_b64 s[0:1], s[0:1], exec
	s_or_b64 s[16:17], s[2:3], s[0:1]
.LBB13_13:                              ;   in Loop: Header=BB13_7 Depth=1
	s_or_b64 exec, exec, s[18:19]
	s_and_saveexec_b64 s[0:1], s[16:17]
	s_cbranch_execz .LBB13_15
; %bb.14:                               ;   in Loop: Header=BB13_7 Depth=1
	v_mov_b32_e32 v11, v13
	s_waitcnt lgkmcnt(0)
	v_mov_b32_e32 v10, v12
.LBB13_15:                              ;   in Loop: Header=BB13_7 Depth=1
	s_or_b64 exec, exec, s[0:1]
	ds_bpermute_b32 v13, v5, v11
	s_waitcnt lgkmcnt(1)
	ds_bpermute_b32 v12, v5, v10
	s_waitcnt lgkmcnt(1)
	v_cmp_lt_f32_e64 s[16:17], v11, v13
	v_cmp_nlt_f32_e64 s[0:1], v11, v13
	s_and_saveexec_b64 s[18:19], s[0:1]
	s_cbranch_execz .LBB13_17
; %bb.16:                               ;   in Loop: Header=BB13_7 Depth=1
	v_cmp_eq_f32_e64 s[0:1], v11, v13
	s_waitcnt lgkmcnt(0)
	v_cmp_lt_i32_e64 s[2:3], v12, v10
	s_and_b64 s[0:1], s[0:1], s[2:3]
	s_andn2_b64 s[2:3], s[16:17], exec
	s_and_b64 s[0:1], s[0:1], exec
	s_or_b64 s[16:17], s[2:3], s[0:1]
.LBB13_17:                              ;   in Loop: Header=BB13_7 Depth=1
	s_or_b64 exec, exec, s[18:19]
	s_and_saveexec_b64 s[0:1], s[16:17]
	s_cbranch_execz .LBB13_19
; %bb.18:                               ;   in Loop: Header=BB13_7 Depth=1
	v_mov_b32_e32 v11, v13
	s_waitcnt lgkmcnt(0)
	v_mov_b32_e32 v10, v12
.LBB13_19:                              ;   in Loop: Header=BB13_7 Depth=1
	s_or_b64 exec, exec, s[0:1]
	s_waitcnt lgkmcnt(0)
	ds_bpermute_b32 v12, v6, v11
	ds_bpermute_b32 v13, v6, v10
	s_waitcnt lgkmcnt(1)
	v_cmp_lt_f32_e64 s[16:17], v11, v12
	v_cmp_nlt_f32_e64 s[0:1], v11, v12
	s_and_saveexec_b64 s[18:19], s[0:1]
	s_cbranch_execnz .LBB13_25
; %bb.20:                               ;   in Loop: Header=BB13_7 Depth=1
	s_or_b64 exec, exec, s[18:19]
	s_and_saveexec_b64 s[0:1], s[16:17]
	s_cbranch_execnz .LBB13_26
.LBB13_21:                              ;   in Loop: Header=BB13_7 Depth=1
	s_or_b64 exec, exec, s[0:1]
	s_and_saveexec_b64 s[16:17], vcc
	s_cbranch_execz .LBB13_23
.LBB13_22:                              ;   in Loop: Header=BB13_7 Depth=1
	v_add_u32_e32 v12, s11, v8
	s_waitcnt lgkmcnt(0)
	v_ashrrev_i32_e32 v13, 31, v12
	v_cmp_le_i32_e64 s[0:1], s9, v10
	v_cmp_gt_i32_e64 s[2:3], s10, v10
	v_lshlrev_b64 v[12:13], 2, v[12:13]
	s_and_b64 s[2:3], s[0:1], s[2:3]
	v_mov_b32_e32 v15, s13
	v_add_co_u32_e64 v14, s[0:1], s12, v12
	v_addc_co_u32_e64 v15, s[0:1], v15, v13, s[0:1]
	global_store_dword v[14:15], v11, off
	v_subrev_u32_e32 v11, s9, v10
	s_and_b64 s[0:1], s[14:15], s[2:3]
	v_cndmask_b32_e64 v11, 64, v11, s[0:1]
	v_mov_b32_e32 v15, s5
	v_add_co_u32_e64 v14, s[0:1], s4, v12
	v_addc_co_u32_e64 v15, s[0:1], v15, v13, s[0:1]
	global_store_dword v[14:15], v11, off
	v_mov_b32_e32 v11, s7
	v_add_co_u32_e64 v12, s[0:1], s6, v12
	v_addc_co_u32_e64 v13, s[0:1], v11, v13, s[0:1]
	global_store_dword v[12:13], v1, off
.LBB13_23:                              ;   in Loop: Header=BB13_7 Depth=1
	s_or_b64 exec, exec, s[16:17]
	v_ashrrev_i32_e32 v12, 31, v10
	v_lshrrev_b32_e32 v11, 30, v12
	s_waitcnt lgkmcnt(0)
	v_add_u32_e32 v13, v10, v11
	v_ashrrev_i32_e32 v11, 2, v13
	v_ashrrev_i32_e32 v13, 31, v13
	v_lshrrev_b32_e32 v13, 28, v13
	v_add_u32_e32 v13, v11, v13
	s_add_i32 s11, s11, 1
	v_and_b32_e32 v13, -16, v13
	s_cmp_lt_i32 s11, s8
	v_sub_u32_e32 v13, v11, v13
	s_cselect_b64 s[2:3], -1, 0
	v_cmp_eq_u32_e64 s[0:1], v2, v13
	s_and_b64 s[2:3], s[2:3], s[0:1]
	s_and_saveexec_b64 s[0:1], s[2:3]
	s_cbranch_execz .LBB13_6
; %bb.24:                               ;   in Loop: Header=BB13_7 Depth=1
	v_lshrrev_b32_e32 v12, 26, v12
	v_add_u32_e32 v12, v10, v12
	v_lshlrev_b32_e32 v11, 2, v11
	v_ashrrev_i32_e32 v12, 6, v12
	v_sub_u32_e32 v10, v10, v11
	v_lshl_add_u32 v10, v12, 2, v10
	v_lshl_add_u32 v10, v10, 2, v0
	ds_write_b32 v10, v9
	s_branch .LBB13_6
.LBB13_25:                              ;   in Loop: Header=BB13_7 Depth=1
	v_cmp_eq_f32_e64 s[0:1], v11, v12
	s_waitcnt lgkmcnt(0)
	v_cmp_lt_i32_e64 s[2:3], v13, v10
	s_and_b64 s[0:1], s[0:1], s[2:3]
	s_andn2_b64 s[2:3], s[16:17], exec
	s_and_b64 s[0:1], s[0:1], exec
	s_or_b64 s[16:17], s[2:3], s[0:1]
	s_or_b64 exec, exec, s[18:19]
	s_and_saveexec_b64 s[0:1], s[16:17]
	s_cbranch_execz .LBB13_21
.LBB13_26:                              ;   in Loop: Header=BB13_7 Depth=1
	v_mov_b32_e32 v11, v12
	s_waitcnt lgkmcnt(0)
	v_mov_b32_e32 v10, v13
	s_or_b64 exec, exec, s[0:1]
	s_and_saveexec_b64 s[16:17], vcc
	s_cbranch_execnz .LBB13_22
	s_branch .LBB13_23
.LBB13_27:
	s_endpgm
	.section	.rodata,"a",@progbits
	.p2align	6, 0x0
	.amdhsa_kernel _ZN4vllm3moe17topkGatingSoftmaxILi4ELi64ELi4ELi16ELi32EiEEvPKfPKbPfiPT4_Piiii
		.amdhsa_group_segment_fixed_size 2048
		.amdhsa_private_segment_fixed_size 0
		.amdhsa_kernarg_size 60
		.amdhsa_user_sgpr_count 8
		.amdhsa_user_sgpr_private_segment_buffer 1
		.amdhsa_user_sgpr_dispatch_ptr 1
		.amdhsa_user_sgpr_queue_ptr 0
		.amdhsa_user_sgpr_kernarg_segment_ptr 1
		.amdhsa_user_sgpr_dispatch_id 0
		.amdhsa_user_sgpr_flat_scratch_init 0
		.amdhsa_user_sgpr_kernarg_preload_length 0
		.amdhsa_user_sgpr_kernarg_preload_offset 0
		.amdhsa_user_sgpr_private_segment_size 0
		.amdhsa_uses_dynamic_stack 0
		.amdhsa_system_sgpr_private_segment_wavefront_offset 0
		.amdhsa_system_sgpr_workgroup_id_x 1
		.amdhsa_system_sgpr_workgroup_id_y 0
		.amdhsa_system_sgpr_workgroup_id_z 0
		.amdhsa_system_sgpr_workgroup_info 0
		.amdhsa_system_vgpr_workitem_id 2
		.amdhsa_next_free_vgpr 26
		.amdhsa_next_free_sgpr 21
		.amdhsa_accum_offset 28
		.amdhsa_reserve_vcc 1
		.amdhsa_reserve_flat_scratch 0
		.amdhsa_float_round_mode_32 0
		.amdhsa_float_round_mode_16_64 0
		.amdhsa_float_denorm_mode_32 3
		.amdhsa_float_denorm_mode_16_64 3
		.amdhsa_dx10_clamp 1
		.amdhsa_ieee_mode 1
		.amdhsa_fp16_overflow 0
		.amdhsa_tg_split 0
		.amdhsa_exception_fp_ieee_invalid_op 0
		.amdhsa_exception_fp_denorm_src 0
		.amdhsa_exception_fp_ieee_div_zero 0
		.amdhsa_exception_fp_ieee_overflow 0
		.amdhsa_exception_fp_ieee_underflow 0
		.amdhsa_exception_fp_ieee_inexact 0
		.amdhsa_exception_int_div_zero 0
	.end_amdhsa_kernel
	.section	.text._ZN4vllm3moe17topkGatingSoftmaxILi4ELi64ELi4ELi16ELi32EiEEvPKfPKbPfiPT4_Piiii,"axG",@progbits,_ZN4vllm3moe17topkGatingSoftmaxILi4ELi64ELi4ELi16ELi32EiEEvPKfPKbPfiPT4_Piiii,comdat
.Lfunc_end13:
	.size	_ZN4vllm3moe17topkGatingSoftmaxILi4ELi64ELi4ELi16ELi32EiEEvPKfPKbPfiPT4_Piiii, .Lfunc_end13-_ZN4vllm3moe17topkGatingSoftmaxILi4ELi64ELi4ELi16ELi32EiEEvPKfPKbPfiPT4_Piiii
                                        ; -- End function
	.section	.AMDGPU.csdata,"",@progbits
; Kernel info:
; codeLenInByte = 1832
; NumSgprs: 25
; NumVgprs: 26
; NumAgprs: 0
; TotalNumVgprs: 26
; ScratchSize: 0
; MemoryBound: 0
; FloatMode: 240
; IeeeMode: 1
; LDSByteSize: 2048 bytes/workgroup (compile time only)
; SGPRBlocks: 3
; VGPRBlocks: 3
; NumSGPRsForWavesPerEU: 25
; NumVGPRsForWavesPerEU: 26
; AccumOffset: 28
; Occupancy: 8
; WaveLimiterHint : 0
; COMPUTE_PGM_RSRC2:SCRATCH_EN: 0
; COMPUTE_PGM_RSRC2:USER_SGPR: 8
; COMPUTE_PGM_RSRC2:TRAP_HANDLER: 0
; COMPUTE_PGM_RSRC2:TGID_X_EN: 1
; COMPUTE_PGM_RSRC2:TGID_Y_EN: 0
; COMPUTE_PGM_RSRC2:TGID_Z_EN: 0
; COMPUTE_PGM_RSRC2:TIDIG_COMP_CNT: 2
; COMPUTE_PGM_RSRC3_GFX90A:ACCUM_OFFSET: 6
; COMPUTE_PGM_RSRC3_GFX90A:TG_SPLIT: 0
	.section	.text._ZN4vllm3moe17topkGatingSoftmaxILi4ELi128ELi4ELi16ELi64EiEEvPKfPKbPfiPT4_Piiii,"axG",@progbits,_ZN4vllm3moe17topkGatingSoftmaxILi4ELi128ELi4ELi16ELi64EiEEvPKfPKbPfiPT4_Piiii,comdat
	.protected	_ZN4vllm3moe17topkGatingSoftmaxILi4ELi128ELi4ELi16ELi64EiEEvPKfPKbPfiPT4_Piiii ; -- Begin function _ZN4vllm3moe17topkGatingSoftmaxILi4ELi128ELi4ELi16ELi64EiEEvPKfPKbPfiPT4_Piiii
	.globl	_ZN4vllm3moe17topkGatingSoftmaxILi4ELi128ELi4ELi16ELi64EiEEvPKfPKbPfiPT4_Piiii
	.p2align	8
	.type	_ZN4vllm3moe17topkGatingSoftmaxILi4ELi128ELi4ELi16ELi64EiEEvPKfPKbPfiPT4_Piiii,@function
_ZN4vllm3moe17topkGatingSoftmaxILi4ELi128ELi4ELi16ELi64EiEEvPKfPKbPfiPT4_Piiii: ; @_ZN4vllm3moe17topkGatingSoftmaxILi4ELi128ELi4ELi16ELi64EiEEvPKfPKbPfiPT4_Piiii
; %bb.0:
	s_load_dword s20, s[6:7], 0x18
	v_and_b32_e32 v8, 0x3ff, v0
	v_bfe_u32 v9, v0, 10, 10
	s_lshl_b32 s0, s8, 3
	v_lshlrev_b32_e32 v1, 1, v9
	v_lshrrev_b32_e32 v2, 5, v8
	v_add3_u32 v1, s0, v1, v2
	s_waitcnt lgkmcnt(0)
	v_cmp_gt_i32_e32 vcc, s20, v1
	s_and_saveexec_b64 s[0:1], vcc
	s_cbranch_execz .LBB14_31
; %bb.1:
	s_load_dwordx4 s[0:3], s[6:7], 0x0
	s_load_dwordx2 s[12:13], s[6:7], 0x10
	s_waitcnt lgkmcnt(0)
	s_cmp_eq_u64 s[2:3], 0
	s_cbranch_scc1 .LBB14_3
; %bb.2:
	v_ashrrev_i32_e32 v3, 31, v1
	v_mov_b32_e32 v4, s3
	v_add_co_u32_e32 v2, vcc, s2, v1
	v_addc_co_u32_e32 v3, vcc, v4, v3, vcc
	global_load_ubyte v2, v[2:3], off
	s_waitcnt vmcnt(0)
	v_and_b32_e32 v2, 1, v2
	v_cmp_eq_u32_e32 vcc, 1, v2
	s_xor_b64 s[2:3], vcc, -1
	s_orn2_b64 s[14:15], s[2:3], exec
	s_branch .LBB14_4
.LBB14_3:
	s_mov_b64 s[14:15], -1
.LBB14_4:
	v_lshlrev_b32_e32 v2, 7, v1
	v_ashrrev_i32_e32 v3, 31, v2
	v_lshlrev_b64 v[2:3], 2, v[2:3]
	v_mov_b32_e32 v4, s1
	v_add_co_u32_e32 v5, vcc, s0, v2
	v_and_b32_e32 v2, 31, v8
	v_addc_co_u32_e32 v3, vcc, v4, v3, vcc
	v_lshlrev_b32_e32 v4, 4, v2
	v_add_co_u32_e32 v4, vcc, v5, v4
	v_addc_co_u32_e32 v5, vcc, 0, v3, vcc
	global_load_dwordx4 v[10:13], v[4:5], off
	v_mbcnt_lo_u32_b32 v3, -1, 0
	v_mbcnt_hi_u32_b32 v7, -1, v3
	v_and_b32_e32 v3, 0x60, v7
	v_xor_b32_e32 v4, 16, v7
	v_add_u32_e32 v14, 32, v3
	v_cmp_lt_i32_e32 vcc, v4, v14
	v_cndmask_b32_e32 v3, v7, v4, vcc
	v_lshlrev_b32_e32 v3, 2, v3
	v_xor_b32_e32 v17, 1, v7
	s_mov_b32 s0, 0x3fb8aa3b
	s_mov_b32 s1, 0xc2ce8ed0
	;; [unrolled: 1-line block ×3, first 2 shown]
	v_bfe_u32 v0, v0, 20, 10
	s_waitcnt vmcnt(0)
	v_max_f32_e32 v4, v11, v11
	v_max_f32_e32 v5, v10, v10
	;; [unrolled: 1-line block ×3, first 2 shown]
	v_max3_f32 v5, v4, v12, v13
	ds_bpermute_b32 v6, v3, v5
	v_xor_b32_e32 v4, 8, v7
	v_cmp_lt_i32_e32 vcc, v4, v14
	v_cndmask_b32_e32 v4, v7, v4, vcc
	v_lshlrev_b32_e32 v4, 2, v4
	s_waitcnt lgkmcnt(0)
	v_max_f32_e32 v6, v6, v6
	v_max_f32_e32 v6, v5, v6
	ds_bpermute_b32 v15, v4, v6
	v_xor_b32_e32 v5, 4, v7
	v_cmp_lt_i32_e32 vcc, v5, v14
	v_cndmask_b32_e32 v5, v7, v5, vcc
	v_lshlrev_b32_e32 v5, 2, v5
	s_waitcnt lgkmcnt(0)
	v_max_f32_e32 v15, v15, v15
	v_max_f32_e32 v15, v6, v15
	;; [unrolled: 8-line block ×3, first 2 shown]
	ds_bpermute_b32 v16, v6, v15
	v_cmp_lt_i32_e32 vcc, v17, v14
	v_cndmask_b32_e32 v7, v7, v17, vcc
	v_lshlrev_b32_e32 v7, 2, v7
	s_waitcnt lgkmcnt(0)
	v_max_f32_e32 v14, v16, v16
	v_max_f32_e32 v14, v15, v14
	ds_bpermute_b32 v15, v7, v14
	v_mov_b32_e32 v16, 0x7f800000
	s_waitcnt lgkmcnt(0)
	v_max_f32_e32 v15, v15, v15
	v_max_f32_e32 v14, v14, v15
	v_pk_add_f32 v[12:13], v[12:13], v[14:15] op_sel_hi:[1,0] neg_lo:[0,1] neg_hi:[0,1]
	v_pk_add_f32 v[10:11], v[10:11], v[14:15] op_sel_hi:[1,0] neg_lo:[0,1] neg_hi:[0,1]
	v_mul_f32_e32 v14, 0x3fb8aa3b, v13
	v_mul_f32_e32 v15, 0x3fb8aa3b, v12
	v_fma_f32 v19, v13, s0, -v14
	v_rndne_f32_e32 v20, v14
	v_mul_f32_e32 v17, 0x3fb8aa3b, v11
	v_fma_f32 v21, v12, s0, -v15
	v_rndne_f32_e32 v22, v15
	v_fmac_f32_e32 v19, 0x32a5705f, v13
	v_sub_f32_e32 v14, v14, v20
	v_mul_f32_e32 v18, 0x3fb8aa3b, v10
	v_fma_f32 v23, v11, s0, -v17
	v_rndne_f32_e32 v24, v17
	v_fmac_f32_e32 v21, 0x32a5705f, v12
	v_sub_f32_e32 v15, v15, v22
	v_add_f32_e32 v14, v14, v19
	v_fma_f32 v25, v10, s0, -v18
	v_rndne_f32_e32 v26, v18
	v_cvt_i32_f32_e32 v20, v20
	v_fmac_f32_e32 v23, 0x32a5705f, v11
	v_sub_f32_e32 v17, v17, v24
	v_add_f32_e32 v15, v15, v21
	v_exp_f32_e32 v14, v14
	v_cvt_i32_f32_e32 v22, v22
	v_fmac_f32_e32 v25, 0x32a5705f, v10
	v_sub_f32_e32 v18, v18, v26
	v_add_f32_e32 v17, v17, v23
	v_exp_f32_e32 v15, v15
	v_cvt_i32_f32_e32 v24, v24
	v_add_f32_e32 v18, v18, v25
	v_exp_f32_e32 v17, v17
	v_cvt_i32_f32_e32 v26, v26
	v_exp_f32_e32 v18, v18
	v_ldexp_f32 v14, v14, v20
	v_cmp_ngt_f32_e32 vcc, s1, v13
	v_ldexp_f32 v15, v15, v22
	v_cndmask_b32_e32 v14, 0, v14, vcc
	v_cmp_ngt_f32_e32 vcc, s1, v12
	v_ldexp_f32 v17, v17, v24
	v_cndmask_b32_e32 v15, 0, v15, vcc
	;; [unrolled: 3-line block ×3, first 2 shown]
	v_cmp_ngt_f32_e32 vcc, s1, v10
	v_cndmask_b32_e32 v18, 0, v18, vcc
	v_cmp_nlt_f32_e32 vcc, s2, v13
	v_cndmask_b32_e32 v13, v16, v14, vcc
	v_cmp_nlt_f32_e32 vcc, s2, v12
	;; [unrolled: 2-line block ×4, first 2 shown]
	v_cndmask_b32_e32 v10, v16, v18, vcc
	v_add_f32_e32 v14, v10, v11
	v_add_f32_e32 v14, v14, v12
	;; [unrolled: 1-line block ×3, first 2 shown]
	ds_bpermute_b32 v15, v3, v14
	s_load_dwordx4 s[8:11], s[6:7], 0x30
	s_load_dwordx2 s[0:1], s[4:5], 0x4
	s_waitcnt lgkmcnt(0)
	s_mov_b32 s11, 0
	v_add_f32_e32 v14, v14, v15
	ds_bpermute_b32 v15, v4, v14
	s_lshr_b32 s0, s0, 16
	s_mul_i32 s0, s0, s1
	v_mul_lo_u32 v8, s0, v8
	v_mad_u32_u24 v8, v9, s1, v8
	s_waitcnt lgkmcnt(0)
	v_add_f32_e32 v14, v14, v15
	ds_bpermute_b32 v15, v5, v14
	v_add_lshl_u32 v0, v8, v0, 4
	s_cmp_lt_i32 s8, 1
	s_waitcnt lgkmcnt(0)
	v_add_f32_e32 v14, v14, v15
	ds_bpermute_b32 v15, v6, v14
	s_waitcnt lgkmcnt(0)
	v_add_f32_e32 v14, v14, v15
	ds_bpermute_b32 v15, v7, v14
	s_waitcnt lgkmcnt(0)
	v_add_f32_e32 v9, v14, v15
	v_div_scale_f32 v14, s[0:1], v9, v9, 1.0
	v_rcp_f32_e32 v15, v14
	v_div_scale_f32 v8, vcc, 1.0, v9, 1.0
	v_fma_f32 v16, -v14, v15, 1.0
	v_fmac_f32_e32 v15, v16, v15
	v_mul_f32_e32 v16, v8, v15
	v_fma_f32 v17, -v14, v16, v8
	v_fmac_f32_e32 v16, v17, v15
	v_fma_f32 v8, -v14, v16, v8
	v_div_fmas_f32 v8, v8, v15, v16
	v_div_fixup_f32 v14, v8, v9, 1.0
	v_pk_mul_f32 v[8:9], v[14:15], v[10:11] op_sel_hi:[0,1]
	v_pk_mul_f32 v[10:11], v[14:15], v[12:13] op_sel_hi:[0,1]
	ds_write_b128 v0, v[8:11]
	s_cbranch_scc1 .LBB14_31
; %bb.5:
	s_load_dwordx4 s[4:7], s[6:7], 0x20
	v_lshlrev_b32_e32 v8, 2, v2
	v_cmp_eq_u32_e32 vcc, 0, v2
	v_mul_lo_u32 v9, v1, s8
	v_mov_b32_e32 v10, 0xc61c4000
	v_mov_b32_e32 v11, 0x80
	s_branch .LBB14_7
.LBB14_6:                               ;   in Loop: Header=BB14_7 Depth=1
	s_or_b64 exec, exec, s[0:1]
	s_cmp_lg_u32 s8, s11
	v_add_u32_e32 v1, s20, v1
	s_cbranch_scc0 .LBB14_31
.LBB14_7:                               ; =>This Inner Loop Header: Depth=1
	ds_read_b128 v[12:15], v0
	s_waitcnt lgkmcnt(0)
	v_cmp_gt_f32_e64 s[0:1], v13, v12
	v_cndmask_b32_e64 v12, v12, v13, s[0:1]
	v_cndmask_b32_e64 v13, 0, 1, s[0:1]
	v_cmp_gt_f32_e64 s[0:1], v14, v12
	v_cndmask_b32_e64 v12, v12, v14, s[0:1]
	v_cndmask_b32_e64 v14, v13, 2, s[0:1]
	;; [unrolled: 3-line block ×3, first 2 shown]
	ds_bpermute_b32 v14, v3, v13
	v_or_b32_e32 v12, v8, v12
	ds_bpermute_b32 v15, v3, v12
	s_waitcnt lgkmcnt(1)
	v_cmp_lt_f32_e64 s[16:17], v13, v14
	v_cmp_nlt_f32_e64 s[0:1], v13, v14
	s_and_saveexec_b64 s[18:19], s[0:1]
	s_cbranch_execz .LBB14_9
; %bb.8:                                ;   in Loop: Header=BB14_7 Depth=1
	v_cmp_eq_f32_e64 s[0:1], v13, v14
	s_waitcnt lgkmcnt(0)
	v_cmp_lt_i32_e64 s[2:3], v15, v12
	s_and_b64 s[0:1], s[0:1], s[2:3]
	s_andn2_b64 s[2:3], s[16:17], exec
	s_and_b64 s[0:1], s[0:1], exec
	s_or_b64 s[16:17], s[2:3], s[0:1]
.LBB14_9:                               ;   in Loop: Header=BB14_7 Depth=1
	s_or_b64 exec, exec, s[18:19]
	s_and_saveexec_b64 s[0:1], s[16:17]
	s_cbranch_execz .LBB14_11
; %bb.10:                               ;   in Loop: Header=BB14_7 Depth=1
	v_mov_b32_e32 v13, v14
	s_waitcnt lgkmcnt(0)
	v_mov_b32_e32 v12, v15
.LBB14_11:                              ;   in Loop: Header=BB14_7 Depth=1
	s_or_b64 exec, exec, s[0:1]
	s_waitcnt lgkmcnt(0)
	ds_bpermute_b32 v15, v4, v13
	ds_bpermute_b32 v14, v4, v12
	s_waitcnt lgkmcnt(1)
	v_cmp_lt_f32_e64 s[16:17], v13, v15
	v_cmp_nlt_f32_e64 s[0:1], v13, v15
	s_and_saveexec_b64 s[18:19], s[0:1]
	s_cbranch_execz .LBB14_13
; %bb.12:                               ;   in Loop: Header=BB14_7 Depth=1
	v_cmp_eq_f32_e64 s[0:1], v13, v15
	s_waitcnt lgkmcnt(0)
	v_cmp_lt_i32_e64 s[2:3], v14, v12
	s_and_b64 s[0:1], s[0:1], s[2:3]
	s_andn2_b64 s[2:3], s[16:17], exec
	s_and_b64 s[0:1], s[0:1], exec
	s_or_b64 s[16:17], s[2:3], s[0:1]
.LBB14_13:                              ;   in Loop: Header=BB14_7 Depth=1
	s_or_b64 exec, exec, s[18:19]
	s_and_saveexec_b64 s[0:1], s[16:17]
	s_cbranch_execz .LBB14_15
; %bb.14:                               ;   in Loop: Header=BB14_7 Depth=1
	v_mov_b32_e32 v13, v15
	s_waitcnt lgkmcnt(0)
	v_mov_b32_e32 v12, v14
.LBB14_15:                              ;   in Loop: Header=BB14_7 Depth=1
	s_or_b64 exec, exec, s[0:1]
	ds_bpermute_b32 v15, v5, v13
	s_waitcnt lgkmcnt(1)
	ds_bpermute_b32 v14, v5, v12
	s_waitcnt lgkmcnt(1)
	v_cmp_lt_f32_e64 s[16:17], v13, v15
	v_cmp_nlt_f32_e64 s[0:1], v13, v15
	s_and_saveexec_b64 s[18:19], s[0:1]
	s_cbranch_execz .LBB14_17
; %bb.16:                               ;   in Loop: Header=BB14_7 Depth=1
	v_cmp_eq_f32_e64 s[0:1], v13, v15
	s_waitcnt lgkmcnt(0)
	v_cmp_lt_i32_e64 s[2:3], v14, v12
	s_and_b64 s[0:1], s[0:1], s[2:3]
	s_andn2_b64 s[2:3], s[16:17], exec
	s_and_b64 s[0:1], s[0:1], exec
	s_or_b64 s[16:17], s[2:3], s[0:1]
.LBB14_17:                              ;   in Loop: Header=BB14_7 Depth=1
	s_or_b64 exec, exec, s[18:19]
	s_and_saveexec_b64 s[0:1], s[16:17]
	s_cbranch_execz .LBB14_19
; %bb.18:                               ;   in Loop: Header=BB14_7 Depth=1
	v_mov_b32_e32 v13, v15
	s_waitcnt lgkmcnt(0)
	v_mov_b32_e32 v12, v14
.LBB14_19:                              ;   in Loop: Header=BB14_7 Depth=1
	s_or_b64 exec, exec, s[0:1]
	ds_bpermute_b32 v15, v6, v13
	s_waitcnt lgkmcnt(1)
	ds_bpermute_b32 v14, v6, v12
	s_waitcnt lgkmcnt(1)
	v_cmp_lt_f32_e64 s[16:17], v13, v15
	v_cmp_nlt_f32_e64 s[0:1], v13, v15
	s_and_saveexec_b64 s[18:19], s[0:1]
	s_cbranch_execz .LBB14_21
; %bb.20:                               ;   in Loop: Header=BB14_7 Depth=1
	v_cmp_eq_f32_e64 s[0:1], v13, v15
	s_waitcnt lgkmcnt(0)
	v_cmp_lt_i32_e64 s[2:3], v14, v12
	s_and_b64 s[0:1], s[0:1], s[2:3]
	s_andn2_b64 s[2:3], s[16:17], exec
	s_and_b64 s[0:1], s[0:1], exec
	s_or_b64 s[16:17], s[2:3], s[0:1]
.LBB14_21:                              ;   in Loop: Header=BB14_7 Depth=1
	s_or_b64 exec, exec, s[18:19]
	s_and_saveexec_b64 s[0:1], s[16:17]
	s_cbranch_execz .LBB14_23
; %bb.22:                               ;   in Loop: Header=BB14_7 Depth=1
	v_mov_b32_e32 v13, v15
	s_waitcnt lgkmcnt(0)
	v_mov_b32_e32 v12, v14
.LBB14_23:                              ;   in Loop: Header=BB14_7 Depth=1
	s_or_b64 exec, exec, s[0:1]
	s_waitcnt lgkmcnt(0)
	ds_bpermute_b32 v14, v7, v13
	ds_bpermute_b32 v15, v7, v12
	s_waitcnt lgkmcnt(1)
	v_cmp_lt_f32_e64 s[16:17], v13, v14
	v_cmp_nlt_f32_e64 s[0:1], v13, v14
	s_and_saveexec_b64 s[18:19], s[0:1]
	s_cbranch_execnz .LBB14_29
; %bb.24:                               ;   in Loop: Header=BB14_7 Depth=1
	s_or_b64 exec, exec, s[18:19]
	s_and_saveexec_b64 s[0:1], s[16:17]
	s_cbranch_execnz .LBB14_30
.LBB14_25:                              ;   in Loop: Header=BB14_7 Depth=1
	s_or_b64 exec, exec, s[0:1]
	s_and_saveexec_b64 s[16:17], vcc
	s_cbranch_execz .LBB14_27
.LBB14_26:                              ;   in Loop: Header=BB14_7 Depth=1
	v_add_u32_e32 v14, s11, v9
	s_waitcnt lgkmcnt(0)
	v_ashrrev_i32_e32 v15, 31, v14
	v_cmp_le_i32_e64 s[0:1], s9, v12
	v_cmp_gt_i32_e64 s[2:3], s10, v12
	v_lshlrev_b64 v[14:15], 2, v[14:15]
	s_and_b64 s[2:3], s[0:1], s[2:3]
	v_mov_b32_e32 v17, s13
	v_add_co_u32_e64 v16, s[0:1], s12, v14
	v_addc_co_u32_e64 v17, s[0:1], v17, v15, s[0:1]
	global_store_dword v[16:17], v13, off
	v_subrev_u32_e32 v13, s9, v12
	s_and_b64 s[0:1], s[14:15], s[2:3]
	v_cndmask_b32_e64 v13, v11, v13, s[0:1]
	v_mov_b32_e32 v17, s5
	v_add_co_u32_e64 v16, s[0:1], s4, v14
	v_addc_co_u32_e64 v17, s[0:1], v17, v15, s[0:1]
	global_store_dword v[16:17], v13, off
	v_mov_b32_e32 v13, s7
	v_add_co_u32_e64 v14, s[0:1], s6, v14
	v_addc_co_u32_e64 v15, s[0:1], v13, v15, s[0:1]
	global_store_dword v[14:15], v1, off
.LBB14_27:                              ;   in Loop: Header=BB14_7 Depth=1
	s_or_b64 exec, exec, s[16:17]
	v_ashrrev_i32_e32 v14, 31, v12
	v_lshrrev_b32_e32 v13, 30, v14
	s_waitcnt lgkmcnt(0)
	v_add_u32_e32 v15, v12, v13
	v_ashrrev_i32_e32 v13, 2, v15
	v_ashrrev_i32_e32 v15, 31, v15
	v_lshrrev_b32_e32 v15, 27, v15
	v_add_u32_e32 v15, v13, v15
	s_add_i32 s11, s11, 1
	v_and_b32_e32 v15, 0xffffffe0, v15
	s_cmp_lt_i32 s11, s8
	v_sub_u32_e32 v15, v13, v15
	s_cselect_b64 s[2:3], -1, 0
	v_cmp_eq_u32_e64 s[0:1], v2, v15
	s_and_b64 s[2:3], s[2:3], s[0:1]
	s_and_saveexec_b64 s[0:1], s[2:3]
	s_cbranch_execz .LBB14_6
; %bb.28:                               ;   in Loop: Header=BB14_7 Depth=1
	v_lshrrev_b32_e32 v14, 25, v14
	v_add_u32_e32 v14, v12, v14
	v_lshlrev_b32_e32 v13, 2, v13
	v_ashrrev_i32_e32 v14, 7, v14
	v_sub_u32_e32 v12, v12, v13
	v_lshl_add_u32 v12, v14, 2, v12
	v_lshl_add_u32 v12, v12, 2, v0
	ds_write_b32 v12, v10
	s_branch .LBB14_6
.LBB14_29:                              ;   in Loop: Header=BB14_7 Depth=1
	v_cmp_eq_f32_e64 s[0:1], v13, v14
	s_waitcnt lgkmcnt(0)
	v_cmp_lt_i32_e64 s[2:3], v15, v12
	s_and_b64 s[0:1], s[0:1], s[2:3]
	s_andn2_b64 s[2:3], s[16:17], exec
	s_and_b64 s[0:1], s[0:1], exec
	s_or_b64 s[16:17], s[2:3], s[0:1]
	s_or_b64 exec, exec, s[18:19]
	s_and_saveexec_b64 s[0:1], s[16:17]
	s_cbranch_execz .LBB14_25
.LBB14_30:                              ;   in Loop: Header=BB14_7 Depth=1
	v_mov_b32_e32 v13, v14
	s_waitcnt lgkmcnt(0)
	v_mov_b32_e32 v12, v15
	s_or_b64 exec, exec, s[0:1]
	s_and_saveexec_b64 s[16:17], vcc
	s_cbranch_execnz .LBB14_26
	s_branch .LBB14_27
.LBB14_31:
	s_endpgm
	.section	.rodata,"a",@progbits
	.p2align	6, 0x0
	.amdhsa_kernel _ZN4vllm3moe17topkGatingSoftmaxILi4ELi128ELi4ELi16ELi64EiEEvPKfPKbPfiPT4_Piiii
		.amdhsa_group_segment_fixed_size 4096
		.amdhsa_private_segment_fixed_size 0
		.amdhsa_kernarg_size 60
		.amdhsa_user_sgpr_count 8
		.amdhsa_user_sgpr_private_segment_buffer 1
		.amdhsa_user_sgpr_dispatch_ptr 1
		.amdhsa_user_sgpr_queue_ptr 0
		.amdhsa_user_sgpr_kernarg_segment_ptr 1
		.amdhsa_user_sgpr_dispatch_id 0
		.amdhsa_user_sgpr_flat_scratch_init 0
		.amdhsa_user_sgpr_kernarg_preload_length 0
		.amdhsa_user_sgpr_kernarg_preload_offset 0
		.amdhsa_user_sgpr_private_segment_size 0
		.amdhsa_uses_dynamic_stack 0
		.amdhsa_system_sgpr_private_segment_wavefront_offset 0
		.amdhsa_system_sgpr_workgroup_id_x 1
		.amdhsa_system_sgpr_workgroup_id_y 0
		.amdhsa_system_sgpr_workgroup_id_z 0
		.amdhsa_system_sgpr_workgroup_info 0
		.amdhsa_system_vgpr_workitem_id 2
		.amdhsa_next_free_vgpr 27
		.amdhsa_next_free_sgpr 21
		.amdhsa_accum_offset 28
		.amdhsa_reserve_vcc 1
		.amdhsa_reserve_flat_scratch 0
		.amdhsa_float_round_mode_32 0
		.amdhsa_float_round_mode_16_64 0
		.amdhsa_float_denorm_mode_32 3
		.amdhsa_float_denorm_mode_16_64 3
		.amdhsa_dx10_clamp 1
		.amdhsa_ieee_mode 1
		.amdhsa_fp16_overflow 0
		.amdhsa_tg_split 0
		.amdhsa_exception_fp_ieee_invalid_op 0
		.amdhsa_exception_fp_denorm_src 0
		.amdhsa_exception_fp_ieee_div_zero 0
		.amdhsa_exception_fp_ieee_overflow 0
		.amdhsa_exception_fp_ieee_underflow 0
		.amdhsa_exception_fp_ieee_inexact 0
		.amdhsa_exception_int_div_zero 0
	.end_amdhsa_kernel
	.section	.text._ZN4vllm3moe17topkGatingSoftmaxILi4ELi128ELi4ELi16ELi64EiEEvPKfPKbPfiPT4_Piiii,"axG",@progbits,_ZN4vllm3moe17topkGatingSoftmaxILi4ELi128ELi4ELi16ELi64EiEEvPKfPKbPfiPT4_Piiii,comdat
.Lfunc_end14:
	.size	_ZN4vllm3moe17topkGatingSoftmaxILi4ELi128ELi4ELi16ELi64EiEEvPKfPKbPfiPT4_Piiii, .Lfunc_end14-_ZN4vllm3moe17topkGatingSoftmaxILi4ELi128ELi4ELi16ELi64EiEEvPKfPKbPfiPT4_Piiii
                                        ; -- End function
	.section	.AMDGPU.csdata,"",@progbits
; Kernel info:
; codeLenInByte = 2012
; NumSgprs: 25
; NumVgprs: 27
; NumAgprs: 0
; TotalNumVgprs: 27
; ScratchSize: 0
; MemoryBound: 0
; FloatMode: 240
; IeeeMode: 1
; LDSByteSize: 4096 bytes/workgroup (compile time only)
; SGPRBlocks: 3
; VGPRBlocks: 3
; NumSGPRsForWavesPerEU: 25
; NumVGPRsForWavesPerEU: 27
; AccumOffset: 28
; Occupancy: 8
; WaveLimiterHint : 0
; COMPUTE_PGM_RSRC2:SCRATCH_EN: 0
; COMPUTE_PGM_RSRC2:USER_SGPR: 8
; COMPUTE_PGM_RSRC2:TRAP_HANDLER: 0
; COMPUTE_PGM_RSRC2:TGID_X_EN: 1
; COMPUTE_PGM_RSRC2:TGID_Y_EN: 0
; COMPUTE_PGM_RSRC2:TGID_Z_EN: 0
; COMPUTE_PGM_RSRC2:TIDIG_COMP_CNT: 2
; COMPUTE_PGM_RSRC3_GFX90A:ACCUM_OFFSET: 6
; COMPUTE_PGM_RSRC3_GFX90A:TG_SPLIT: 0
	.section	.text._ZN4vllm3moe17topkGatingSoftmaxILi4ELi128ELi4ELi16ELi32EiEEvPKfPKbPfiPT4_Piiii,"axG",@progbits,_ZN4vllm3moe17topkGatingSoftmaxILi4ELi128ELi4ELi16ELi32EiEEvPKfPKbPfiPT4_Piiii,comdat
	.protected	_ZN4vllm3moe17topkGatingSoftmaxILi4ELi128ELi4ELi16ELi32EiEEvPKfPKbPfiPT4_Piiii ; -- Begin function _ZN4vllm3moe17topkGatingSoftmaxILi4ELi128ELi4ELi16ELi32EiEEvPKfPKbPfiPT4_Piiii
	.globl	_ZN4vllm3moe17topkGatingSoftmaxILi4ELi128ELi4ELi16ELi32EiEEvPKfPKbPfiPT4_Piiii
	.p2align	8
	.type	_ZN4vllm3moe17topkGatingSoftmaxILi4ELi128ELi4ELi16ELi32EiEEvPKfPKbPfiPT4_Piiii,@function
_ZN4vllm3moe17topkGatingSoftmaxILi4ELi128ELi4ELi16ELi32EiEEvPKfPKbPfiPT4_Piiii: ; @_ZN4vllm3moe17topkGatingSoftmaxILi4ELi128ELi4ELi16ELi32EiEEvPKfPKbPfiPT4_Piiii
; %bb.0:
	s_load_dword s20, s[6:7], 0x18
	v_and_b32_e32 v8, 0x3ff, v0
	v_bfe_u32 v9, v0, 10, 10
	s_lshl_b32 s0, s8, 2
	v_lshrrev_b32_e32 v1, 5, v8
	v_add3_u32 v1, s0, v9, v1
	s_waitcnt lgkmcnt(0)
	v_cmp_gt_i32_e32 vcc, s20, v1
	s_and_saveexec_b64 s[0:1], vcc
	s_cbranch_execz .LBB15_31
; %bb.1:
	s_load_dwordx4 s[0:3], s[6:7], 0x0
	s_load_dwordx2 s[12:13], s[6:7], 0x10
	s_waitcnt lgkmcnt(0)
	s_cmp_eq_u64 s[2:3], 0
	s_cbranch_scc1 .LBB15_3
; %bb.2:
	v_ashrrev_i32_e32 v3, 31, v1
	v_mov_b32_e32 v4, s3
	v_add_co_u32_e32 v2, vcc, s2, v1
	v_addc_co_u32_e32 v3, vcc, v4, v3, vcc
	global_load_ubyte v2, v[2:3], off
	s_waitcnt vmcnt(0)
	v_and_b32_e32 v2, 1, v2
	v_cmp_eq_u32_e32 vcc, 1, v2
	s_xor_b64 s[2:3], vcc, -1
	s_orn2_b64 s[14:15], s[2:3], exec
	s_branch .LBB15_4
.LBB15_3:
	s_mov_b64 s[14:15], -1
.LBB15_4:
	v_lshlrev_b32_e32 v2, 7, v1
	v_ashrrev_i32_e32 v3, 31, v2
	v_lshlrev_b64 v[2:3], 2, v[2:3]
	v_mov_b32_e32 v4, s1
	v_add_co_u32_e32 v5, vcc, s0, v2
	v_and_b32_e32 v2, 31, v8
	v_addc_co_u32_e32 v3, vcc, v4, v3, vcc
	v_lshlrev_b32_e32 v4, 4, v2
	v_add_co_u32_e32 v4, vcc, v5, v4
	v_addc_co_u32_e32 v5, vcc, 0, v3, vcc
	global_load_dwordx4 v[10:13], v[4:5], off
	v_mbcnt_lo_u32_b32 v3, -1, 0
	v_mbcnt_hi_u32_b32 v7, -1, v3
	v_and_b32_e32 v3, 0x60, v7
	v_xor_b32_e32 v4, 16, v7
	v_add_u32_e32 v14, 32, v3
	v_cmp_lt_i32_e32 vcc, v4, v14
	v_cndmask_b32_e32 v3, v7, v4, vcc
	v_lshlrev_b32_e32 v3, 2, v3
	v_xor_b32_e32 v17, 1, v7
	s_mov_b32 s0, 0x3fb8aa3b
	s_mov_b32 s1, 0xc2ce8ed0
	;; [unrolled: 1-line block ×3, first 2 shown]
	v_bfe_u32 v0, v0, 20, 10
	s_waitcnt vmcnt(0)
	v_max_f32_e32 v4, v11, v11
	v_max_f32_e32 v5, v10, v10
	;; [unrolled: 1-line block ×3, first 2 shown]
	v_max3_f32 v5, v4, v12, v13
	ds_bpermute_b32 v6, v3, v5
	v_xor_b32_e32 v4, 8, v7
	v_cmp_lt_i32_e32 vcc, v4, v14
	v_cndmask_b32_e32 v4, v7, v4, vcc
	v_lshlrev_b32_e32 v4, 2, v4
	s_waitcnt lgkmcnt(0)
	v_max_f32_e32 v6, v6, v6
	v_max_f32_e32 v6, v5, v6
	ds_bpermute_b32 v15, v4, v6
	v_xor_b32_e32 v5, 4, v7
	v_cmp_lt_i32_e32 vcc, v5, v14
	v_cndmask_b32_e32 v5, v7, v5, vcc
	v_lshlrev_b32_e32 v5, 2, v5
	s_waitcnt lgkmcnt(0)
	v_max_f32_e32 v15, v15, v15
	v_max_f32_e32 v15, v6, v15
	;; [unrolled: 8-line block ×3, first 2 shown]
	ds_bpermute_b32 v16, v6, v15
	v_cmp_lt_i32_e32 vcc, v17, v14
	v_cndmask_b32_e32 v7, v7, v17, vcc
	v_lshlrev_b32_e32 v7, 2, v7
	s_waitcnt lgkmcnt(0)
	v_max_f32_e32 v14, v16, v16
	v_max_f32_e32 v14, v15, v14
	ds_bpermute_b32 v15, v7, v14
	v_mov_b32_e32 v16, 0x7f800000
	s_waitcnt lgkmcnt(0)
	v_max_f32_e32 v15, v15, v15
	v_max_f32_e32 v14, v14, v15
	v_pk_add_f32 v[12:13], v[12:13], v[14:15] op_sel_hi:[1,0] neg_lo:[0,1] neg_hi:[0,1]
	v_pk_add_f32 v[10:11], v[10:11], v[14:15] op_sel_hi:[1,0] neg_lo:[0,1] neg_hi:[0,1]
	v_mul_f32_e32 v14, 0x3fb8aa3b, v13
	v_mul_f32_e32 v15, 0x3fb8aa3b, v12
	v_fma_f32 v19, v13, s0, -v14
	v_rndne_f32_e32 v20, v14
	v_mul_f32_e32 v17, 0x3fb8aa3b, v11
	v_fma_f32 v21, v12, s0, -v15
	v_rndne_f32_e32 v22, v15
	v_fmac_f32_e32 v19, 0x32a5705f, v13
	v_sub_f32_e32 v14, v14, v20
	v_mul_f32_e32 v18, 0x3fb8aa3b, v10
	v_fma_f32 v23, v11, s0, -v17
	v_rndne_f32_e32 v24, v17
	v_fmac_f32_e32 v21, 0x32a5705f, v12
	v_sub_f32_e32 v15, v15, v22
	v_add_f32_e32 v14, v14, v19
	v_fma_f32 v25, v10, s0, -v18
	v_rndne_f32_e32 v26, v18
	v_cvt_i32_f32_e32 v20, v20
	v_fmac_f32_e32 v23, 0x32a5705f, v11
	v_sub_f32_e32 v17, v17, v24
	v_add_f32_e32 v15, v15, v21
	v_exp_f32_e32 v14, v14
	v_cvt_i32_f32_e32 v22, v22
	v_fmac_f32_e32 v25, 0x32a5705f, v10
	v_sub_f32_e32 v18, v18, v26
	v_add_f32_e32 v17, v17, v23
	v_exp_f32_e32 v15, v15
	v_cvt_i32_f32_e32 v24, v24
	v_add_f32_e32 v18, v18, v25
	v_exp_f32_e32 v17, v17
	v_cvt_i32_f32_e32 v26, v26
	v_exp_f32_e32 v18, v18
	v_ldexp_f32 v14, v14, v20
	v_cmp_ngt_f32_e32 vcc, s1, v13
	v_ldexp_f32 v15, v15, v22
	v_cndmask_b32_e32 v14, 0, v14, vcc
	v_cmp_ngt_f32_e32 vcc, s1, v12
	v_ldexp_f32 v17, v17, v24
	v_cndmask_b32_e32 v15, 0, v15, vcc
	;; [unrolled: 3-line block ×3, first 2 shown]
	v_cmp_ngt_f32_e32 vcc, s1, v10
	v_cndmask_b32_e32 v18, 0, v18, vcc
	v_cmp_nlt_f32_e32 vcc, s2, v13
	v_cndmask_b32_e32 v13, v16, v14, vcc
	v_cmp_nlt_f32_e32 vcc, s2, v12
	;; [unrolled: 2-line block ×4, first 2 shown]
	v_cndmask_b32_e32 v10, v16, v18, vcc
	v_add_f32_e32 v14, v10, v11
	v_add_f32_e32 v14, v14, v12
	;; [unrolled: 1-line block ×3, first 2 shown]
	ds_bpermute_b32 v15, v3, v14
	s_load_dwordx4 s[8:11], s[6:7], 0x30
	s_load_dwordx2 s[0:1], s[4:5], 0x4
	s_waitcnt lgkmcnt(0)
	s_mov_b32 s11, 0
	v_add_f32_e32 v14, v14, v15
	ds_bpermute_b32 v15, v4, v14
	s_lshr_b32 s0, s0, 16
	v_mul_u32_u24_e32 v9, s1, v9
	s_mul_i32 s0, s0, s1
	v_mad_u32_u24 v8, s0, v8, v9
	s_waitcnt lgkmcnt(0)
	v_add_f32_e32 v14, v14, v15
	ds_bpermute_b32 v15, v5, v14
	v_add_lshl_u32 v0, v8, v0, 4
	s_cmp_lt_i32 s8, 1
	s_waitcnt lgkmcnt(0)
	v_add_f32_e32 v14, v14, v15
	ds_bpermute_b32 v15, v6, v14
	s_waitcnt lgkmcnt(0)
	v_add_f32_e32 v14, v14, v15
	ds_bpermute_b32 v15, v7, v14
	s_waitcnt lgkmcnt(0)
	v_add_f32_e32 v9, v14, v15
	v_div_scale_f32 v14, s[0:1], v9, v9, 1.0
	v_rcp_f32_e32 v15, v14
	v_div_scale_f32 v8, vcc, 1.0, v9, 1.0
	v_fma_f32 v16, -v14, v15, 1.0
	v_fmac_f32_e32 v15, v16, v15
	v_mul_f32_e32 v16, v8, v15
	v_fma_f32 v17, -v14, v16, v8
	v_fmac_f32_e32 v16, v17, v15
	v_fma_f32 v8, -v14, v16, v8
	v_div_fmas_f32 v8, v8, v15, v16
	v_div_fixup_f32 v14, v8, v9, 1.0
	v_pk_mul_f32 v[8:9], v[14:15], v[10:11] op_sel_hi:[0,1]
	v_pk_mul_f32 v[10:11], v[14:15], v[12:13] op_sel_hi:[0,1]
	ds_write_b128 v0, v[8:11]
	s_cbranch_scc1 .LBB15_31
; %bb.5:
	s_load_dwordx4 s[4:7], s[6:7], 0x20
	v_lshlrev_b32_e32 v8, 2, v2
	v_cmp_eq_u32_e32 vcc, 0, v2
	v_mul_lo_u32 v9, v1, s8
	v_mov_b32_e32 v10, 0xc61c4000
	v_mov_b32_e32 v11, 0x80
	s_branch .LBB15_7
.LBB15_6:                               ;   in Loop: Header=BB15_7 Depth=1
	s_or_b64 exec, exec, s[0:1]
	s_cmp_lg_u32 s8, s11
	v_add_u32_e32 v1, s20, v1
	s_cbranch_scc0 .LBB15_31
.LBB15_7:                               ; =>This Inner Loop Header: Depth=1
	ds_read_b128 v[12:15], v0
	s_waitcnt lgkmcnt(0)
	v_cmp_gt_f32_e64 s[0:1], v13, v12
	v_cndmask_b32_e64 v12, v12, v13, s[0:1]
	v_cndmask_b32_e64 v13, 0, 1, s[0:1]
	v_cmp_gt_f32_e64 s[0:1], v14, v12
	v_cndmask_b32_e64 v12, v12, v14, s[0:1]
	v_cndmask_b32_e64 v14, v13, 2, s[0:1]
	;; [unrolled: 3-line block ×3, first 2 shown]
	ds_bpermute_b32 v14, v3, v13
	v_or_b32_e32 v12, v8, v12
	ds_bpermute_b32 v15, v3, v12
	s_waitcnt lgkmcnt(1)
	v_cmp_lt_f32_e64 s[16:17], v13, v14
	v_cmp_nlt_f32_e64 s[0:1], v13, v14
	s_and_saveexec_b64 s[18:19], s[0:1]
	s_cbranch_execz .LBB15_9
; %bb.8:                                ;   in Loop: Header=BB15_7 Depth=1
	v_cmp_eq_f32_e64 s[0:1], v13, v14
	s_waitcnt lgkmcnt(0)
	v_cmp_lt_i32_e64 s[2:3], v15, v12
	s_and_b64 s[0:1], s[0:1], s[2:3]
	s_andn2_b64 s[2:3], s[16:17], exec
	s_and_b64 s[0:1], s[0:1], exec
	s_or_b64 s[16:17], s[2:3], s[0:1]
.LBB15_9:                               ;   in Loop: Header=BB15_7 Depth=1
	s_or_b64 exec, exec, s[18:19]
	s_and_saveexec_b64 s[0:1], s[16:17]
	s_cbranch_execz .LBB15_11
; %bb.10:                               ;   in Loop: Header=BB15_7 Depth=1
	v_mov_b32_e32 v13, v14
	s_waitcnt lgkmcnt(0)
	v_mov_b32_e32 v12, v15
.LBB15_11:                              ;   in Loop: Header=BB15_7 Depth=1
	s_or_b64 exec, exec, s[0:1]
	s_waitcnt lgkmcnt(0)
	ds_bpermute_b32 v15, v4, v13
	ds_bpermute_b32 v14, v4, v12
	s_waitcnt lgkmcnt(1)
	v_cmp_lt_f32_e64 s[16:17], v13, v15
	v_cmp_nlt_f32_e64 s[0:1], v13, v15
	s_and_saveexec_b64 s[18:19], s[0:1]
	s_cbranch_execz .LBB15_13
; %bb.12:                               ;   in Loop: Header=BB15_7 Depth=1
	v_cmp_eq_f32_e64 s[0:1], v13, v15
	s_waitcnt lgkmcnt(0)
	v_cmp_lt_i32_e64 s[2:3], v14, v12
	s_and_b64 s[0:1], s[0:1], s[2:3]
	s_andn2_b64 s[2:3], s[16:17], exec
	s_and_b64 s[0:1], s[0:1], exec
	s_or_b64 s[16:17], s[2:3], s[0:1]
.LBB15_13:                              ;   in Loop: Header=BB15_7 Depth=1
	s_or_b64 exec, exec, s[18:19]
	s_and_saveexec_b64 s[0:1], s[16:17]
	s_cbranch_execz .LBB15_15
; %bb.14:                               ;   in Loop: Header=BB15_7 Depth=1
	v_mov_b32_e32 v13, v15
	s_waitcnt lgkmcnt(0)
	v_mov_b32_e32 v12, v14
.LBB15_15:                              ;   in Loop: Header=BB15_7 Depth=1
	s_or_b64 exec, exec, s[0:1]
	ds_bpermute_b32 v15, v5, v13
	s_waitcnt lgkmcnt(1)
	ds_bpermute_b32 v14, v5, v12
	s_waitcnt lgkmcnt(1)
	v_cmp_lt_f32_e64 s[16:17], v13, v15
	v_cmp_nlt_f32_e64 s[0:1], v13, v15
	s_and_saveexec_b64 s[18:19], s[0:1]
	s_cbranch_execz .LBB15_17
; %bb.16:                               ;   in Loop: Header=BB15_7 Depth=1
	v_cmp_eq_f32_e64 s[0:1], v13, v15
	s_waitcnt lgkmcnt(0)
	v_cmp_lt_i32_e64 s[2:3], v14, v12
	s_and_b64 s[0:1], s[0:1], s[2:3]
	s_andn2_b64 s[2:3], s[16:17], exec
	s_and_b64 s[0:1], s[0:1], exec
	s_or_b64 s[16:17], s[2:3], s[0:1]
.LBB15_17:                              ;   in Loop: Header=BB15_7 Depth=1
	s_or_b64 exec, exec, s[18:19]
	s_and_saveexec_b64 s[0:1], s[16:17]
	s_cbranch_execz .LBB15_19
; %bb.18:                               ;   in Loop: Header=BB15_7 Depth=1
	v_mov_b32_e32 v13, v15
	s_waitcnt lgkmcnt(0)
	v_mov_b32_e32 v12, v14
.LBB15_19:                              ;   in Loop: Header=BB15_7 Depth=1
	s_or_b64 exec, exec, s[0:1]
	ds_bpermute_b32 v15, v6, v13
	s_waitcnt lgkmcnt(1)
	ds_bpermute_b32 v14, v6, v12
	s_waitcnt lgkmcnt(1)
	v_cmp_lt_f32_e64 s[16:17], v13, v15
	v_cmp_nlt_f32_e64 s[0:1], v13, v15
	s_and_saveexec_b64 s[18:19], s[0:1]
	s_cbranch_execz .LBB15_21
; %bb.20:                               ;   in Loop: Header=BB15_7 Depth=1
	v_cmp_eq_f32_e64 s[0:1], v13, v15
	s_waitcnt lgkmcnt(0)
	v_cmp_lt_i32_e64 s[2:3], v14, v12
	s_and_b64 s[0:1], s[0:1], s[2:3]
	s_andn2_b64 s[2:3], s[16:17], exec
	s_and_b64 s[0:1], s[0:1], exec
	s_or_b64 s[16:17], s[2:3], s[0:1]
.LBB15_21:                              ;   in Loop: Header=BB15_7 Depth=1
	s_or_b64 exec, exec, s[18:19]
	s_and_saveexec_b64 s[0:1], s[16:17]
	s_cbranch_execz .LBB15_23
; %bb.22:                               ;   in Loop: Header=BB15_7 Depth=1
	v_mov_b32_e32 v13, v15
	s_waitcnt lgkmcnt(0)
	v_mov_b32_e32 v12, v14
.LBB15_23:                              ;   in Loop: Header=BB15_7 Depth=1
	s_or_b64 exec, exec, s[0:1]
	s_waitcnt lgkmcnt(0)
	ds_bpermute_b32 v14, v7, v13
	ds_bpermute_b32 v15, v7, v12
	s_waitcnt lgkmcnt(1)
	v_cmp_lt_f32_e64 s[16:17], v13, v14
	v_cmp_nlt_f32_e64 s[0:1], v13, v14
	s_and_saveexec_b64 s[18:19], s[0:1]
	s_cbranch_execnz .LBB15_29
; %bb.24:                               ;   in Loop: Header=BB15_7 Depth=1
	s_or_b64 exec, exec, s[18:19]
	s_and_saveexec_b64 s[0:1], s[16:17]
	s_cbranch_execnz .LBB15_30
.LBB15_25:                              ;   in Loop: Header=BB15_7 Depth=1
	s_or_b64 exec, exec, s[0:1]
	s_and_saveexec_b64 s[16:17], vcc
	s_cbranch_execz .LBB15_27
.LBB15_26:                              ;   in Loop: Header=BB15_7 Depth=1
	v_add_u32_e32 v14, s11, v9
	s_waitcnt lgkmcnt(0)
	v_ashrrev_i32_e32 v15, 31, v14
	v_cmp_le_i32_e64 s[0:1], s9, v12
	v_cmp_gt_i32_e64 s[2:3], s10, v12
	v_lshlrev_b64 v[14:15], 2, v[14:15]
	s_and_b64 s[2:3], s[0:1], s[2:3]
	v_mov_b32_e32 v17, s13
	v_add_co_u32_e64 v16, s[0:1], s12, v14
	v_addc_co_u32_e64 v17, s[0:1], v17, v15, s[0:1]
	global_store_dword v[16:17], v13, off
	v_subrev_u32_e32 v13, s9, v12
	s_and_b64 s[0:1], s[14:15], s[2:3]
	v_cndmask_b32_e64 v13, v11, v13, s[0:1]
	v_mov_b32_e32 v17, s5
	v_add_co_u32_e64 v16, s[0:1], s4, v14
	v_addc_co_u32_e64 v17, s[0:1], v17, v15, s[0:1]
	global_store_dword v[16:17], v13, off
	v_mov_b32_e32 v13, s7
	v_add_co_u32_e64 v14, s[0:1], s6, v14
	v_addc_co_u32_e64 v15, s[0:1], v13, v15, s[0:1]
	global_store_dword v[14:15], v1, off
.LBB15_27:                              ;   in Loop: Header=BB15_7 Depth=1
	s_or_b64 exec, exec, s[16:17]
	v_ashrrev_i32_e32 v14, 31, v12
	v_lshrrev_b32_e32 v13, 30, v14
	s_waitcnt lgkmcnt(0)
	v_add_u32_e32 v15, v12, v13
	v_ashrrev_i32_e32 v13, 2, v15
	v_ashrrev_i32_e32 v15, 31, v15
	v_lshrrev_b32_e32 v15, 27, v15
	v_add_u32_e32 v15, v13, v15
	s_add_i32 s11, s11, 1
	v_and_b32_e32 v15, 0xffffffe0, v15
	s_cmp_lt_i32 s11, s8
	v_sub_u32_e32 v15, v13, v15
	s_cselect_b64 s[2:3], -1, 0
	v_cmp_eq_u32_e64 s[0:1], v2, v15
	s_and_b64 s[2:3], s[2:3], s[0:1]
	s_and_saveexec_b64 s[0:1], s[2:3]
	s_cbranch_execz .LBB15_6
; %bb.28:                               ;   in Loop: Header=BB15_7 Depth=1
	v_lshrrev_b32_e32 v14, 25, v14
	v_add_u32_e32 v14, v12, v14
	v_lshlrev_b32_e32 v13, 2, v13
	v_ashrrev_i32_e32 v14, 7, v14
	v_sub_u32_e32 v12, v12, v13
	v_lshl_add_u32 v12, v14, 2, v12
	v_lshl_add_u32 v12, v12, 2, v0
	ds_write_b32 v12, v10
	s_branch .LBB15_6
.LBB15_29:                              ;   in Loop: Header=BB15_7 Depth=1
	v_cmp_eq_f32_e64 s[0:1], v13, v14
	s_waitcnt lgkmcnt(0)
	v_cmp_lt_i32_e64 s[2:3], v15, v12
	s_and_b64 s[0:1], s[0:1], s[2:3]
	s_andn2_b64 s[2:3], s[16:17], exec
	s_and_b64 s[0:1], s[0:1], exec
	s_or_b64 s[16:17], s[2:3], s[0:1]
	s_or_b64 exec, exec, s[18:19]
	s_and_saveexec_b64 s[0:1], s[16:17]
	s_cbranch_execz .LBB15_25
.LBB15_30:                              ;   in Loop: Header=BB15_7 Depth=1
	v_mov_b32_e32 v13, v14
	s_waitcnt lgkmcnt(0)
	v_mov_b32_e32 v12, v15
	s_or_b64 exec, exec, s[0:1]
	s_and_saveexec_b64 s[16:17], vcc
	s_cbranch_execnz .LBB15_26
	s_branch .LBB15_27
.LBB15_31:
	s_endpgm
	.section	.rodata,"a",@progbits
	.p2align	6, 0x0
	.amdhsa_kernel _ZN4vllm3moe17topkGatingSoftmaxILi4ELi128ELi4ELi16ELi32EiEEvPKfPKbPfiPT4_Piiii
		.amdhsa_group_segment_fixed_size 2048
		.amdhsa_private_segment_fixed_size 0
		.amdhsa_kernarg_size 60
		.amdhsa_user_sgpr_count 8
		.amdhsa_user_sgpr_private_segment_buffer 1
		.amdhsa_user_sgpr_dispatch_ptr 1
		.amdhsa_user_sgpr_queue_ptr 0
		.amdhsa_user_sgpr_kernarg_segment_ptr 1
		.amdhsa_user_sgpr_dispatch_id 0
		.amdhsa_user_sgpr_flat_scratch_init 0
		.amdhsa_user_sgpr_kernarg_preload_length 0
		.amdhsa_user_sgpr_kernarg_preload_offset 0
		.amdhsa_user_sgpr_private_segment_size 0
		.amdhsa_uses_dynamic_stack 0
		.amdhsa_system_sgpr_private_segment_wavefront_offset 0
		.amdhsa_system_sgpr_workgroup_id_x 1
		.amdhsa_system_sgpr_workgroup_id_y 0
		.amdhsa_system_sgpr_workgroup_id_z 0
		.amdhsa_system_sgpr_workgroup_info 0
		.amdhsa_system_vgpr_workitem_id 2
		.amdhsa_next_free_vgpr 27
		.amdhsa_next_free_sgpr 21
		.amdhsa_accum_offset 28
		.amdhsa_reserve_vcc 1
		.amdhsa_reserve_flat_scratch 0
		.amdhsa_float_round_mode_32 0
		.amdhsa_float_round_mode_16_64 0
		.amdhsa_float_denorm_mode_32 3
		.amdhsa_float_denorm_mode_16_64 3
		.amdhsa_dx10_clamp 1
		.amdhsa_ieee_mode 1
		.amdhsa_fp16_overflow 0
		.amdhsa_tg_split 0
		.amdhsa_exception_fp_ieee_invalid_op 0
		.amdhsa_exception_fp_denorm_src 0
		.amdhsa_exception_fp_ieee_div_zero 0
		.amdhsa_exception_fp_ieee_overflow 0
		.amdhsa_exception_fp_ieee_underflow 0
		.amdhsa_exception_fp_ieee_inexact 0
		.amdhsa_exception_int_div_zero 0
	.end_amdhsa_kernel
	.section	.text._ZN4vllm3moe17topkGatingSoftmaxILi4ELi128ELi4ELi16ELi32EiEEvPKfPKbPfiPT4_Piiii,"axG",@progbits,_ZN4vllm3moe17topkGatingSoftmaxILi4ELi128ELi4ELi16ELi32EiEEvPKfPKbPfiPT4_Piiii,comdat
.Lfunc_end15:
	.size	_ZN4vllm3moe17topkGatingSoftmaxILi4ELi128ELi4ELi16ELi32EiEEvPKfPKbPfiPT4_Piiii, .Lfunc_end15-_ZN4vllm3moe17topkGatingSoftmaxILi4ELi128ELi4ELi16ELi32EiEEvPKfPKbPfiPT4_Piiii
                                        ; -- End function
	.section	.AMDGPU.csdata,"",@progbits
; Kernel info:
; codeLenInByte = 2004
; NumSgprs: 25
; NumVgprs: 27
; NumAgprs: 0
; TotalNumVgprs: 27
; ScratchSize: 0
; MemoryBound: 0
; FloatMode: 240
; IeeeMode: 1
; LDSByteSize: 2048 bytes/workgroup (compile time only)
; SGPRBlocks: 3
; VGPRBlocks: 3
; NumSGPRsForWavesPerEU: 25
; NumVGPRsForWavesPerEU: 27
; AccumOffset: 28
; Occupancy: 8
; WaveLimiterHint : 0
; COMPUTE_PGM_RSRC2:SCRATCH_EN: 0
; COMPUTE_PGM_RSRC2:USER_SGPR: 8
; COMPUTE_PGM_RSRC2:TRAP_HANDLER: 0
; COMPUTE_PGM_RSRC2:TGID_X_EN: 1
; COMPUTE_PGM_RSRC2:TGID_Y_EN: 0
; COMPUTE_PGM_RSRC2:TGID_Z_EN: 0
; COMPUTE_PGM_RSRC2:TIDIG_COMP_CNT: 2
; COMPUTE_PGM_RSRC3_GFX90A:ACCUM_OFFSET: 6
; COMPUTE_PGM_RSRC3_GFX90A:TG_SPLIT: 0
	.section	.text._ZN4vllm3moe17topkGatingSoftmaxILi4ELi256ELi4ELi16ELi64EiEEvPKfPKbPfiPT4_Piiii,"axG",@progbits,_ZN4vllm3moe17topkGatingSoftmaxILi4ELi256ELi4ELi16ELi64EiEEvPKfPKbPfiPT4_Piiii,comdat
	.protected	_ZN4vllm3moe17topkGatingSoftmaxILi4ELi256ELi4ELi16ELi64EiEEvPKfPKbPfiPT4_Piiii ; -- Begin function _ZN4vllm3moe17topkGatingSoftmaxILi4ELi256ELi4ELi16ELi64EiEEvPKfPKbPfiPT4_Piiii
	.globl	_ZN4vllm3moe17topkGatingSoftmaxILi4ELi256ELi4ELi16ELi64EiEEvPKfPKbPfiPT4_Piiii
	.p2align	8
	.type	_ZN4vllm3moe17topkGatingSoftmaxILi4ELi256ELi4ELi16ELi64EiEEvPKfPKbPfiPT4_Piiii,@function
_ZN4vllm3moe17topkGatingSoftmaxILi4ELi256ELi4ELi16ELi64EiEEvPKfPKbPfiPT4_Piiii: ; @_ZN4vllm3moe17topkGatingSoftmaxILi4ELi256ELi4ELi16ELi64EiEEvPKfPKbPfiPT4_Piiii
; %bb.0:
	s_load_dword s20, s[6:7], 0x18
	v_and_b32_e32 v9, 0x3ff, v0
	v_bfe_u32 v10, v0, 10, 10
	s_lshl_b32 s0, s8, 2
	v_lshrrev_b32_e32 v1, 6, v9
	v_add3_u32 v1, s0, v10, v1
	s_waitcnt lgkmcnt(0)
	v_cmp_gt_i32_e32 vcc, s20, v1
	s_and_saveexec_b64 s[0:1], vcc
	s_cbranch_execz .LBB16_35
; %bb.1:
	s_load_dwordx4 s[0:3], s[6:7], 0x0
	s_load_dwordx2 s[12:13], s[6:7], 0x10
	s_waitcnt lgkmcnt(0)
	s_cmp_eq_u64 s[2:3], 0
	s_cbranch_scc1 .LBB16_3
; %bb.2:
	v_ashrrev_i32_e32 v3, 31, v1
	v_mov_b32_e32 v4, s3
	v_add_co_u32_e32 v2, vcc, s2, v1
	v_addc_co_u32_e32 v3, vcc, v4, v3, vcc
	global_load_ubyte v2, v[2:3], off
	s_waitcnt vmcnt(0)
	v_and_b32_e32 v2, 1, v2
	v_cmp_eq_u32_e32 vcc, 1, v2
	s_xor_b64 s[2:3], vcc, -1
	s_orn2_b64 s[14:15], s[2:3], exec
	s_branch .LBB16_4
.LBB16_3:
	s_mov_b64 s[14:15], -1
.LBB16_4:
	v_lshlrev_b32_e32 v2, 8, v1
	v_ashrrev_i32_e32 v3, 31, v2
	v_lshlrev_b64 v[2:3], 2, v[2:3]
	v_mov_b32_e32 v4, s1
	v_add_co_u32_e32 v5, vcc, s0, v2
	v_and_b32_e32 v2, 63, v9
	v_addc_co_u32_e32 v3, vcc, v4, v3, vcc
	v_lshlrev_b32_e32 v4, 4, v2
	v_add_co_u32_e32 v4, vcc, v5, v4
	v_addc_co_u32_e32 v5, vcc, 0, v3, vcc
	global_load_dwordx4 v[12:15], v[4:5], off
	v_mbcnt_lo_u32_b32 v3, -1, 0
	v_mbcnt_hi_u32_b32 v8, -1, v3
	v_and_b32_e32 v3, 64, v8
	v_xor_b32_e32 v4, 32, v8
	v_add_u32_e32 v11, 64, v3
	v_cmp_lt_i32_e32 vcc, v4, v11
	v_cndmask_b32_e32 v3, v8, v4, vcc
	v_lshlrev_b32_e32 v3, 2, v3
	v_xor_b32_e32 v18, 1, v8
	s_mov_b32 s0, 0x3fb8aa3b
	s_mov_b32 s1, 0xc2ce8ed0
	;; [unrolled: 1-line block ×3, first 2 shown]
	v_bfe_u32 v0, v0, 20, 10
	s_waitcnt vmcnt(0)
	v_max_f32_e32 v4, v13, v13
	v_max_f32_e32 v5, v12, v12
	;; [unrolled: 1-line block ×3, first 2 shown]
	v_max3_f32 v5, v4, v14, v15
	ds_bpermute_b32 v6, v3, v5
	v_xor_b32_e32 v4, 16, v8
	v_cmp_lt_i32_e32 vcc, v4, v11
	v_cndmask_b32_e32 v4, v8, v4, vcc
	v_lshlrev_b32_e32 v4, 2, v4
	s_waitcnt lgkmcnt(0)
	v_max_f32_e32 v6, v6, v6
	v_max_f32_e32 v6, v5, v6
	ds_bpermute_b32 v7, v4, v6
	v_xor_b32_e32 v5, 8, v8
	v_cmp_lt_i32_e32 vcc, v5, v11
	v_cndmask_b32_e32 v5, v8, v5, vcc
	v_lshlrev_b32_e32 v5, 2, v5
	s_waitcnt lgkmcnt(0)
	v_max_f32_e32 v7, v7, v7
	v_max_f32_e32 v7, v6, v7
	;; [unrolled: 8-line block ×4, first 2 shown]
	ds_bpermute_b32 v17, v7, v16
	v_cmp_lt_i32_e32 vcc, v18, v11
	v_cndmask_b32_e32 v8, v8, v18, vcc
	v_lshlrev_b32_e32 v8, 2, v8
	s_waitcnt lgkmcnt(0)
	v_max_f32_e32 v11, v17, v17
	v_max_f32_e32 v11, v16, v11
	ds_bpermute_b32 v16, v8, v11
	v_mov_b32_e32 v17, 0x7f800000
	s_waitcnt lgkmcnt(0)
	v_max_f32_e32 v16, v16, v16
	v_max_f32_e32 v16, v11, v16
	v_pk_add_f32 v[14:15], v[14:15], v[16:17] op_sel_hi:[1,0] neg_lo:[0,1] neg_hi:[0,1]
	v_mul_f32_e32 v11, 0x3fb8aa3b, v15
	v_pk_add_f32 v[12:13], v[12:13], v[16:17] op_sel_hi:[1,0] neg_lo:[0,1] neg_hi:[0,1]
	v_mul_f32_e32 v16, 0x3fb8aa3b, v14
	v_fma_f32 v20, v15, s0, -v11
	v_rndne_f32_e32 v21, v11
	v_mul_f32_e32 v18, 0x3fb8aa3b, v13
	v_fma_f32 v22, v14, s0, -v16
	v_rndne_f32_e32 v23, v16
	v_fmac_f32_e32 v20, 0x32a5705f, v15
	v_sub_f32_e32 v11, v11, v21
	v_mul_f32_e32 v19, 0x3fb8aa3b, v12
	v_fma_f32 v24, v13, s0, -v18
	v_rndne_f32_e32 v25, v18
	v_fmac_f32_e32 v22, 0x32a5705f, v14
	v_sub_f32_e32 v16, v16, v23
	v_add_f32_e32 v11, v11, v20
	v_fma_f32 v26, v12, s0, -v19
	v_rndne_f32_e32 v27, v19
	v_cvt_i32_f32_e32 v21, v21
	v_fmac_f32_e32 v24, 0x32a5705f, v13
	v_sub_f32_e32 v18, v18, v25
	v_add_f32_e32 v16, v16, v22
	v_exp_f32_e32 v11, v11
	v_cvt_i32_f32_e32 v23, v23
	v_fmac_f32_e32 v26, 0x32a5705f, v12
	v_sub_f32_e32 v19, v19, v27
	v_add_f32_e32 v18, v18, v24
	v_exp_f32_e32 v16, v16
	v_cvt_i32_f32_e32 v25, v25
	v_add_f32_e32 v19, v19, v26
	v_exp_f32_e32 v18, v18
	v_cvt_i32_f32_e32 v27, v27
	v_exp_f32_e32 v19, v19
	v_ldexp_f32 v11, v11, v21
	v_cmp_ngt_f32_e32 vcc, s1, v15
	v_ldexp_f32 v16, v16, v23
	v_cndmask_b32_e32 v11, 0, v11, vcc
	v_cmp_ngt_f32_e32 vcc, s1, v14
	v_ldexp_f32 v18, v18, v25
	v_cndmask_b32_e32 v16, 0, v16, vcc
	;; [unrolled: 3-line block ×3, first 2 shown]
	v_cmp_ngt_f32_e32 vcc, s1, v12
	v_cndmask_b32_e32 v19, 0, v19, vcc
	v_cmp_nlt_f32_e32 vcc, s2, v15
	v_cndmask_b32_e32 v15, v17, v11, vcc
	v_cmp_nlt_f32_e32 vcc, s2, v14
	;; [unrolled: 2-line block ×4, first 2 shown]
	v_cndmask_b32_e32 v12, v17, v19, vcc
	v_add_f32_e32 v11, v12, v13
	v_add_f32_e32 v11, v11, v14
	;; [unrolled: 1-line block ×3, first 2 shown]
	ds_bpermute_b32 v16, v3, v11
	s_load_dwordx4 s[8:11], s[6:7], 0x30
	s_load_dwordx2 s[0:1], s[4:5], 0x4
	s_waitcnt lgkmcnt(0)
	s_mov_b32 s11, 0
	v_add_f32_e32 v11, v11, v16
	ds_bpermute_b32 v16, v4, v11
	s_lshr_b32 s0, s0, 16
	s_mul_i32 s0, s0, s1
	v_mul_lo_u32 v9, s0, v9
	v_mad_u32_u24 v9, v10, s1, v9
	s_waitcnt lgkmcnt(0)
	v_add_f32_e32 v11, v11, v16
	ds_bpermute_b32 v16, v5, v11
	v_add_lshl_u32 v0, v9, v0, 4
	s_cmp_lt_i32 s8, 1
	s_waitcnt lgkmcnt(0)
	v_add_f32_e32 v11, v11, v16
	ds_bpermute_b32 v16, v6, v11
	s_waitcnt lgkmcnt(0)
	v_add_f32_e32 v11, v11, v16
	ds_bpermute_b32 v16, v7, v11
	;; [unrolled: 3-line block ×3, first 2 shown]
	s_waitcnt lgkmcnt(0)
	v_add_f32_e32 v10, v11, v16
	v_div_scale_f32 v11, s[0:1], v10, v10, 1.0
	v_rcp_f32_e32 v16, v11
	v_div_scale_f32 v9, vcc, 1.0, v10, 1.0
	v_fma_f32 v17, -v11, v16, 1.0
	v_fmac_f32_e32 v16, v17, v16
	v_mul_f32_e32 v17, v9, v16
	v_fma_f32 v18, -v11, v17, v9
	v_fmac_f32_e32 v17, v18, v16
	v_fma_f32 v9, -v11, v17, v9
	v_div_fmas_f32 v9, v9, v16, v17
	v_div_fixup_f32 v16, v9, v10, 1.0
	v_pk_mul_f32 v[10:11], v[16:17], v[12:13] op_sel_hi:[0,1]
	v_pk_mul_f32 v[12:13], v[16:17], v[14:15] op_sel_hi:[0,1]
	ds_write_b128 v0, v[10:13]
	s_cbranch_scc1 .LBB16_35
; %bb.5:
	s_load_dwordx4 s[4:7], s[6:7], 0x20
	v_lshlrev_b32_e32 v9, 2, v2
	v_cmp_eq_u32_e32 vcc, 0, v2
	v_mul_lo_u32 v10, v1, s8
	v_mov_b32_e32 v11, 0xc61c4000
	v_mov_b32_e32 v12, 0x100
	s_branch .LBB16_7
.LBB16_6:                               ;   in Loop: Header=BB16_7 Depth=1
	s_or_b64 exec, exec, s[0:1]
	s_cmp_lg_u32 s8, s11
	v_add_u32_e32 v1, s20, v1
	s_cbranch_scc0 .LBB16_35
.LBB16_7:                               ; =>This Inner Loop Header: Depth=1
	ds_read_b128 v[14:17], v0
	s_waitcnt lgkmcnt(0)
	v_cmp_gt_f32_e64 s[0:1], v15, v14
	v_cndmask_b32_e64 v13, v14, v15, s[0:1]
	v_cndmask_b32_e64 v14, 0, 1, s[0:1]
	v_cmp_gt_f32_e64 s[0:1], v16, v13
	v_cndmask_b32_e64 v13, v13, v16, s[0:1]
	v_cndmask_b32_e64 v15, v14, 2, s[0:1]
	;; [unrolled: 3-line block ×3, first 2 shown]
	ds_bpermute_b32 v15, v3, v14
	v_or_b32_e32 v13, v9, v13
	ds_bpermute_b32 v16, v3, v13
	s_waitcnt lgkmcnt(1)
	v_cmp_lt_f32_e64 s[16:17], v14, v15
	v_cmp_nlt_f32_e64 s[0:1], v14, v15
	s_and_saveexec_b64 s[18:19], s[0:1]
	s_cbranch_execz .LBB16_9
; %bb.8:                                ;   in Loop: Header=BB16_7 Depth=1
	v_cmp_eq_f32_e64 s[0:1], v14, v15
	s_waitcnt lgkmcnt(0)
	v_cmp_lt_i32_e64 s[2:3], v16, v13
	s_and_b64 s[0:1], s[0:1], s[2:3]
	s_andn2_b64 s[2:3], s[16:17], exec
	s_and_b64 s[0:1], s[0:1], exec
	s_or_b64 s[16:17], s[2:3], s[0:1]
.LBB16_9:                               ;   in Loop: Header=BB16_7 Depth=1
	s_or_b64 exec, exec, s[18:19]
	s_and_saveexec_b64 s[0:1], s[16:17]
	s_cbranch_execz .LBB16_11
; %bb.10:                               ;   in Loop: Header=BB16_7 Depth=1
	v_mov_b32_e32 v14, v15
	s_waitcnt lgkmcnt(0)
	v_mov_b32_e32 v13, v16
.LBB16_11:                              ;   in Loop: Header=BB16_7 Depth=1
	s_or_b64 exec, exec, s[0:1]
	s_waitcnt lgkmcnt(0)
	ds_bpermute_b32 v16, v4, v14
	ds_bpermute_b32 v15, v4, v13
	s_waitcnt lgkmcnt(1)
	v_cmp_lt_f32_e64 s[16:17], v14, v16
	v_cmp_nlt_f32_e64 s[0:1], v14, v16
	s_and_saveexec_b64 s[18:19], s[0:1]
	s_cbranch_execz .LBB16_13
; %bb.12:                               ;   in Loop: Header=BB16_7 Depth=1
	v_cmp_eq_f32_e64 s[0:1], v14, v16
	s_waitcnt lgkmcnt(0)
	v_cmp_lt_i32_e64 s[2:3], v15, v13
	s_and_b64 s[0:1], s[0:1], s[2:3]
	s_andn2_b64 s[2:3], s[16:17], exec
	s_and_b64 s[0:1], s[0:1], exec
	s_or_b64 s[16:17], s[2:3], s[0:1]
.LBB16_13:                              ;   in Loop: Header=BB16_7 Depth=1
	s_or_b64 exec, exec, s[18:19]
	s_and_saveexec_b64 s[0:1], s[16:17]
	s_cbranch_execz .LBB16_15
; %bb.14:                               ;   in Loop: Header=BB16_7 Depth=1
	v_mov_b32_e32 v14, v16
	s_waitcnt lgkmcnt(0)
	v_mov_b32_e32 v13, v15
.LBB16_15:                              ;   in Loop: Header=BB16_7 Depth=1
	s_or_b64 exec, exec, s[0:1]
	ds_bpermute_b32 v16, v5, v14
	s_waitcnt lgkmcnt(1)
	ds_bpermute_b32 v15, v5, v13
	s_waitcnt lgkmcnt(1)
	v_cmp_lt_f32_e64 s[16:17], v14, v16
	v_cmp_nlt_f32_e64 s[0:1], v14, v16
	s_and_saveexec_b64 s[18:19], s[0:1]
	s_cbranch_execz .LBB16_17
; %bb.16:                               ;   in Loop: Header=BB16_7 Depth=1
	v_cmp_eq_f32_e64 s[0:1], v14, v16
	s_waitcnt lgkmcnt(0)
	v_cmp_lt_i32_e64 s[2:3], v15, v13
	s_and_b64 s[0:1], s[0:1], s[2:3]
	s_andn2_b64 s[2:3], s[16:17], exec
	s_and_b64 s[0:1], s[0:1], exec
	s_or_b64 s[16:17], s[2:3], s[0:1]
.LBB16_17:                              ;   in Loop: Header=BB16_7 Depth=1
	s_or_b64 exec, exec, s[18:19]
	s_and_saveexec_b64 s[0:1], s[16:17]
	s_cbranch_execz .LBB16_19
; %bb.18:                               ;   in Loop: Header=BB16_7 Depth=1
	v_mov_b32_e32 v14, v16
	s_waitcnt lgkmcnt(0)
	v_mov_b32_e32 v13, v15
.LBB16_19:                              ;   in Loop: Header=BB16_7 Depth=1
	s_or_b64 exec, exec, s[0:1]
	ds_bpermute_b32 v16, v6, v14
	s_waitcnt lgkmcnt(1)
	;; [unrolled: 26-line block ×3, first 2 shown]
	ds_bpermute_b32 v15, v7, v13
	s_waitcnt lgkmcnt(1)
	v_cmp_lt_f32_e64 s[16:17], v14, v16
	v_cmp_nlt_f32_e64 s[0:1], v14, v16
	s_and_saveexec_b64 s[18:19], s[0:1]
	s_cbranch_execz .LBB16_25
; %bb.24:                               ;   in Loop: Header=BB16_7 Depth=1
	v_cmp_eq_f32_e64 s[0:1], v14, v16
	s_waitcnt lgkmcnt(0)
	v_cmp_lt_i32_e64 s[2:3], v15, v13
	s_and_b64 s[0:1], s[0:1], s[2:3]
	s_andn2_b64 s[2:3], s[16:17], exec
	s_and_b64 s[0:1], s[0:1], exec
	s_or_b64 s[16:17], s[2:3], s[0:1]
.LBB16_25:                              ;   in Loop: Header=BB16_7 Depth=1
	s_or_b64 exec, exec, s[18:19]
	s_and_saveexec_b64 s[0:1], s[16:17]
	s_cbranch_execz .LBB16_27
; %bb.26:                               ;   in Loop: Header=BB16_7 Depth=1
	v_mov_b32_e32 v14, v16
	s_waitcnt lgkmcnt(0)
	v_mov_b32_e32 v13, v15
.LBB16_27:                              ;   in Loop: Header=BB16_7 Depth=1
	s_or_b64 exec, exec, s[0:1]
	s_waitcnt lgkmcnt(0)
	ds_bpermute_b32 v15, v8, v14
	ds_bpermute_b32 v16, v8, v13
	s_waitcnt lgkmcnt(1)
	v_cmp_lt_f32_e64 s[16:17], v14, v15
	v_cmp_nlt_f32_e64 s[0:1], v14, v15
	s_and_saveexec_b64 s[18:19], s[0:1]
	s_cbranch_execnz .LBB16_33
; %bb.28:                               ;   in Loop: Header=BB16_7 Depth=1
	s_or_b64 exec, exec, s[18:19]
	s_and_saveexec_b64 s[0:1], s[16:17]
	s_cbranch_execnz .LBB16_34
.LBB16_29:                              ;   in Loop: Header=BB16_7 Depth=1
	s_or_b64 exec, exec, s[0:1]
	s_and_saveexec_b64 s[16:17], vcc
	s_cbranch_execz .LBB16_31
.LBB16_30:                              ;   in Loop: Header=BB16_7 Depth=1
	s_waitcnt lgkmcnt(0)
	v_add_u32_e32 v16, s11, v10
	v_ashrrev_i32_e32 v17, 31, v16
	v_cmp_le_i32_e64 s[0:1], s9, v13
	v_cmp_gt_i32_e64 s[2:3], s10, v13
	v_lshlrev_b64 v[16:17], 2, v[16:17]
	s_and_b64 s[2:3], s[0:1], s[2:3]
	v_mov_b32_e32 v15, s13
	v_add_co_u32_e64 v18, s[0:1], s12, v16
	v_addc_co_u32_e64 v19, s[0:1], v15, v17, s[0:1]
	global_store_dword v[18:19], v14, off
	v_subrev_u32_e32 v14, s9, v13
	s_and_b64 s[0:1], s[14:15], s[2:3]
	v_cndmask_b32_e64 v18, v12, v14, s[0:1]
	v_mov_b32_e32 v15, s5
	v_add_co_u32_e64 v14, s[0:1], s4, v16
	v_addc_co_u32_e64 v15, s[0:1], v15, v17, s[0:1]
	global_store_dword v[14:15], v18, off
	v_mov_b32_e32 v15, s7
	v_add_co_u32_e64 v14, s[0:1], s6, v16
	v_addc_co_u32_e64 v15, s[0:1], v15, v17, s[0:1]
	global_store_dword v[14:15], v1, off
.LBB16_31:                              ;   in Loop: Header=BB16_7 Depth=1
	s_or_b64 exec, exec, s[16:17]
	v_ashrrev_i32_e32 v14, 31, v13
	v_lshrrev_b32_e32 v15, 30, v14
	s_waitcnt lgkmcnt(0)
	v_add_u32_e32 v16, v13, v15
	v_ashrrev_i32_e32 v15, 2, v16
	v_ashrrev_i32_e32 v16, 31, v16
	v_lshrrev_b32_e32 v16, 26, v16
	v_add_u32_e32 v16, v15, v16
	s_add_i32 s11, s11, 1
	v_and_b32_e32 v16, 0xffffffc0, v16
	s_cmp_lt_i32 s11, s8
	v_sub_u32_e32 v16, v15, v16
	s_cselect_b64 s[2:3], -1, 0
	v_cmp_eq_u32_e64 s[0:1], v2, v16
	s_and_b64 s[2:3], s[2:3], s[0:1]
	s_and_saveexec_b64 s[0:1], s[2:3]
	s_cbranch_execz .LBB16_6
; %bb.32:                               ;   in Loop: Header=BB16_7 Depth=1
	v_add_u32_sdwa v14, v13, v14 dst_sel:DWORD dst_unused:UNUSED_PAD src0_sel:DWORD src1_sel:BYTE_3
	v_lshlrev_b32_e32 v15, 2, v15
	v_ashrrev_i32_e32 v14, 8, v14
	v_sub_u32_e32 v13, v13, v15
	v_lshl_add_u32 v13, v14, 2, v13
	v_lshl_add_u32 v13, v13, 2, v0
	ds_write_b32 v13, v11
	s_branch .LBB16_6
.LBB16_33:                              ;   in Loop: Header=BB16_7 Depth=1
	v_cmp_eq_f32_e64 s[0:1], v14, v15
	s_waitcnt lgkmcnt(0)
	v_cmp_lt_i32_e64 s[2:3], v16, v13
	s_and_b64 s[0:1], s[0:1], s[2:3]
	s_andn2_b64 s[2:3], s[16:17], exec
	s_and_b64 s[0:1], s[0:1], exec
	s_or_b64 s[16:17], s[2:3], s[0:1]
	s_or_b64 exec, exec, s[18:19]
	s_and_saveexec_b64 s[0:1], s[16:17]
	s_cbranch_execz .LBB16_29
.LBB16_34:                              ;   in Loop: Header=BB16_7 Depth=1
	v_mov_b32_e32 v14, v15
	s_waitcnt lgkmcnt(0)
	v_mov_b32_e32 v13, v16
	s_or_b64 exec, exec, s[0:1]
	s_and_saveexec_b64 s[16:17], vcc
	s_cbranch_execnz .LBB16_30
	s_branch .LBB16_31
.LBB16_35:
	s_endpgm
	.section	.rodata,"a",@progbits
	.p2align	6, 0x0
	.amdhsa_kernel _ZN4vllm3moe17topkGatingSoftmaxILi4ELi256ELi4ELi16ELi64EiEEvPKfPKbPfiPT4_Piiii
		.amdhsa_group_segment_fixed_size 4096
		.amdhsa_private_segment_fixed_size 0
		.amdhsa_kernarg_size 60
		.amdhsa_user_sgpr_count 8
		.amdhsa_user_sgpr_private_segment_buffer 1
		.amdhsa_user_sgpr_dispatch_ptr 1
		.amdhsa_user_sgpr_queue_ptr 0
		.amdhsa_user_sgpr_kernarg_segment_ptr 1
		.amdhsa_user_sgpr_dispatch_id 0
		.amdhsa_user_sgpr_flat_scratch_init 0
		.amdhsa_user_sgpr_kernarg_preload_length 0
		.amdhsa_user_sgpr_kernarg_preload_offset 0
		.amdhsa_user_sgpr_private_segment_size 0
		.amdhsa_uses_dynamic_stack 0
		.amdhsa_system_sgpr_private_segment_wavefront_offset 0
		.amdhsa_system_sgpr_workgroup_id_x 1
		.amdhsa_system_sgpr_workgroup_id_y 0
		.amdhsa_system_sgpr_workgroup_id_z 0
		.amdhsa_system_sgpr_workgroup_info 0
		.amdhsa_system_vgpr_workitem_id 2
		.amdhsa_next_free_vgpr 28
		.amdhsa_next_free_sgpr 21
		.amdhsa_accum_offset 28
		.amdhsa_reserve_vcc 1
		.amdhsa_reserve_flat_scratch 0
		.amdhsa_float_round_mode_32 0
		.amdhsa_float_round_mode_16_64 0
		.amdhsa_float_denorm_mode_32 3
		.amdhsa_float_denorm_mode_16_64 3
		.amdhsa_dx10_clamp 1
		.amdhsa_ieee_mode 1
		.amdhsa_fp16_overflow 0
		.amdhsa_tg_split 0
		.amdhsa_exception_fp_ieee_invalid_op 0
		.amdhsa_exception_fp_denorm_src 0
		.amdhsa_exception_fp_ieee_div_zero 0
		.amdhsa_exception_fp_ieee_overflow 0
		.amdhsa_exception_fp_ieee_underflow 0
		.amdhsa_exception_fp_ieee_inexact 0
		.amdhsa_exception_int_div_zero 0
	.end_amdhsa_kernel
	.section	.text._ZN4vllm3moe17topkGatingSoftmaxILi4ELi256ELi4ELi16ELi64EiEEvPKfPKbPfiPT4_Piiii,"axG",@progbits,_ZN4vllm3moe17topkGatingSoftmaxILi4ELi256ELi4ELi16ELi64EiEEvPKfPKbPfiPT4_Piiii,comdat
.Lfunc_end16:
	.size	_ZN4vllm3moe17topkGatingSoftmaxILi4ELi256ELi4ELi16ELi64EiEEvPKfPKbPfiPT4_Piiii, .Lfunc_end16-_ZN4vllm3moe17topkGatingSoftmaxILi4ELi256ELi4ELi16ELi64EiEEvPKfPKbPfiPT4_Piiii
                                        ; -- End function
	.section	.AMDGPU.csdata,"",@progbits
; Kernel info:
; codeLenInByte = 2168
; NumSgprs: 25
; NumVgprs: 28
; NumAgprs: 0
; TotalNumVgprs: 28
; ScratchSize: 0
; MemoryBound: 0
; FloatMode: 240
; IeeeMode: 1
; LDSByteSize: 4096 bytes/workgroup (compile time only)
; SGPRBlocks: 3
; VGPRBlocks: 3
; NumSGPRsForWavesPerEU: 25
; NumVGPRsForWavesPerEU: 28
; AccumOffset: 28
; Occupancy: 8
; WaveLimiterHint : 0
; COMPUTE_PGM_RSRC2:SCRATCH_EN: 0
; COMPUTE_PGM_RSRC2:USER_SGPR: 8
; COMPUTE_PGM_RSRC2:TRAP_HANDLER: 0
; COMPUTE_PGM_RSRC2:TGID_X_EN: 1
; COMPUTE_PGM_RSRC2:TGID_Y_EN: 0
; COMPUTE_PGM_RSRC2:TGID_Z_EN: 0
; COMPUTE_PGM_RSRC2:TIDIG_COMP_CNT: 2
; COMPUTE_PGM_RSRC3_GFX90A:ACCUM_OFFSET: 6
; COMPUTE_PGM_RSRC3_GFX90A:TG_SPLIT: 0
	.section	.text._ZN4vllm3moe17topkGatingSoftmaxILi8ELi256ELi4ELi16ELi32EiEEvPKfPKbPfiPT4_Piiii,"axG",@progbits,_ZN4vllm3moe17topkGatingSoftmaxILi8ELi256ELi4ELi16ELi32EiEEvPKfPKbPfiPT4_Piiii,comdat
	.protected	_ZN4vllm3moe17topkGatingSoftmaxILi8ELi256ELi4ELi16ELi32EiEEvPKfPKbPfiPT4_Piiii ; -- Begin function _ZN4vllm3moe17topkGatingSoftmaxILi8ELi256ELi4ELi16ELi32EiEEvPKfPKbPfiPT4_Piiii
	.globl	_ZN4vllm3moe17topkGatingSoftmaxILi8ELi256ELi4ELi16ELi32EiEEvPKfPKbPfiPT4_Piiii
	.p2align	8
	.type	_ZN4vllm3moe17topkGatingSoftmaxILi8ELi256ELi4ELi16ELi32EiEEvPKfPKbPfiPT4_Piiii,@function
_ZN4vllm3moe17topkGatingSoftmaxILi8ELi256ELi4ELi16ELi32EiEEvPKfPKbPfiPT4_Piiii: ; @_ZN4vllm3moe17topkGatingSoftmaxILi8ELi256ELi4ELi16ELi32EiEEvPKfPKbPfiPT4_Piiii
; %bb.0:
	s_load_dword s20, s[6:7], 0x18
	v_and_b32_e32 v8, 0x3ff, v0
	v_bfe_u32 v9, v0, 10, 10
	s_lshl_b32 s0, s8, 2
	v_lshrrev_b32_e32 v1, 5, v8
	v_add3_u32 v1, s0, v9, v1
	s_waitcnt lgkmcnt(0)
	v_cmp_gt_i32_e32 vcc, s20, v1
	s_and_saveexec_b64 s[0:1], vcc
	s_cbranch_execz .LBB17_31
; %bb.1:
	s_load_dwordx4 s[0:3], s[6:7], 0x0
	s_load_dwordx2 s[12:13], s[6:7], 0x10
	s_waitcnt lgkmcnt(0)
	s_cmp_eq_u64 s[2:3], 0
	s_cbranch_scc1 .LBB17_3
; %bb.2:
	v_ashrrev_i32_e32 v3, 31, v1
	v_mov_b32_e32 v4, s3
	v_add_co_u32_e32 v2, vcc, s2, v1
	v_addc_co_u32_e32 v3, vcc, v4, v3, vcc
	global_load_ubyte v2, v[2:3], off
	s_waitcnt vmcnt(0)
	v_and_b32_e32 v2, 1, v2
	v_cmp_eq_u32_e32 vcc, 1, v2
	s_xor_b64 s[2:3], vcc, -1
	s_orn2_b64 s[14:15], s[2:3], exec
	s_branch .LBB17_4
.LBB17_3:
	s_mov_b64 s[14:15], -1
.LBB17_4:
	v_lshlrev_b32_e32 v2, 8, v1
	v_ashrrev_i32_e32 v3, 31, v2
	v_lshlrev_b64 v[2:3], 2, v[2:3]
	v_mov_b32_e32 v4, s1
	v_add_co_u32_e32 v5, vcc, s0, v2
	v_and_b32_e32 v2, 31, v8
	v_addc_co_u32_e32 v3, vcc, v4, v3, vcc
	v_lshlrev_b32_e32 v4, 4, v2
	v_add_co_u32_e32 v4, vcc, v5, v4
	v_addc_co_u32_e32 v5, vcc, 0, v3, vcc
	global_load_dwordx4 v[10:13], v[4:5], off
	global_load_dwordx4 v[14:17], v[4:5], off offset:512
	v_mbcnt_lo_u32_b32 v3, -1, 0
	v_mbcnt_hi_u32_b32 v7, -1, v3
	v_and_b32_e32 v3, 0x60, v7
	v_xor_b32_e32 v4, 16, v7
	v_add_u32_e32 v18, 32, v3
	v_cmp_lt_i32_e32 vcc, v4, v18
	v_cndmask_b32_e32 v3, v7, v4, vcc
	v_lshlrev_b32_e32 v3, 2, v3
	v_xor_b32_e32 v21, 1, v7
	s_mov_b32 s0, 0x3fb8aa3b
	s_mov_b32 s1, 0xc2ce8ed0
	;; [unrolled: 1-line block ×3, first 2 shown]
	v_bfe_u32 v0, v0, 20, 10
	s_waitcnt vmcnt(1)
	v_max_f32_e32 v4, v11, v11
	v_max_f32_e32 v5, v10, v10
	;; [unrolled: 1-line block ×3, first 2 shown]
	v_max3_f32 v4, v4, v12, v13
	s_waitcnt vmcnt(0)
	v_max3_f32 v4, v4, v14, v15
	v_max3_f32 v5, v4, v16, v17
	ds_bpermute_b32 v6, v3, v5
	v_xor_b32_e32 v4, 8, v7
	v_cmp_lt_i32_e32 vcc, v4, v18
	v_cndmask_b32_e32 v4, v7, v4, vcc
	v_lshlrev_b32_e32 v4, 2, v4
	s_waitcnt lgkmcnt(0)
	v_max_f32_e32 v6, v6, v6
	v_max_f32_e32 v6, v5, v6
	ds_bpermute_b32 v19, v4, v6
	v_xor_b32_e32 v5, 4, v7
	v_cmp_lt_i32_e32 vcc, v5, v18
	v_cndmask_b32_e32 v5, v7, v5, vcc
	v_lshlrev_b32_e32 v5, 2, v5
	s_waitcnt lgkmcnt(0)
	v_max_f32_e32 v19, v19, v19
	v_max_f32_e32 v19, v6, v19
	;; [unrolled: 8-line block ×3, first 2 shown]
	ds_bpermute_b32 v20, v6, v19
	v_cmp_lt_i32_e32 vcc, v21, v18
	v_cndmask_b32_e32 v7, v7, v21, vcc
	v_lshlrev_b32_e32 v7, 2, v7
	s_waitcnt lgkmcnt(0)
	v_max_f32_e32 v18, v20, v20
	v_max_f32_e32 v18, v19, v18
	ds_bpermute_b32 v19, v7, v18
	v_mov_b32_e32 v20, 0x7f800000
	s_waitcnt lgkmcnt(0)
	v_max_f32_e32 v19, v19, v19
	v_max_f32_e32 v18, v18, v19
	v_pk_add_f32 v[12:13], v[12:13], v[18:19] op_sel_hi:[1,0] neg_lo:[0,1] neg_hi:[0,1]
	v_pk_add_f32 v[14:15], v[14:15], v[18:19] op_sel_hi:[1,0] neg_lo:[0,1] neg_hi:[0,1]
	;; [unrolled: 1-line block ×3, first 2 shown]
	v_mul_f32_e32 v19, 0x3fb8aa3b, v13
	v_mul_f32_e32 v21, 0x3fb8aa3b, v12
	v_fma_f32 v26, v13, s0, -v19
	v_rndne_f32_e32 v27, v19
	v_mul_f32_e32 v22, 0x3fb8aa3b, v15
	v_fma_f32 v28, v12, s0, -v21
	v_rndne_f32_e32 v29, v21
	v_fmac_f32_e32 v26, 0x32a5705f, v13
	v_sub_f32_e32 v19, v19, v27
	v_mul_f32_e32 v23, 0x3fb8aa3b, v14
	v_fma_f32 v30, v15, s0, -v22
	v_rndne_f32_e32 v31, v22
	v_fmac_f32_e32 v28, 0x32a5705f, v12
	v_sub_f32_e32 v21, v21, v29
	v_add_f32_e32 v19, v19, v26
	v_fma_f32 v32, v14, s0, -v23
	v_rndne_f32_e32 v33, v23
	v_cvt_i32_f32_e32 v27, v27
	v_fmac_f32_e32 v30, 0x32a5705f, v15
	v_sub_f32_e32 v22, v22, v31
	v_add_f32_e32 v21, v21, v28
	v_exp_f32_e32 v19, v19
	v_cvt_i32_f32_e32 v29, v29
	v_fmac_f32_e32 v32, 0x32a5705f, v14
	v_sub_f32_e32 v23, v23, v33
	v_add_f32_e32 v22, v22, v30
	v_exp_f32_e32 v21, v21
	v_cvt_i32_f32_e32 v31, v31
	v_add_f32_e32 v23, v23, v32
	v_exp_f32_e32 v22, v22
	v_cvt_i32_f32_e32 v33, v33
	v_exp_f32_e32 v23, v23
	v_mul_f32_e32 v24, 0x3fb8aa3b, v17
	v_ldexp_f32 v19, v19, v27
	v_cmp_ngt_f32_e32 vcc, s1, v13
	v_fma_f32 v34, v17, s0, -v24
	v_rndne_f32_e32 v35, v24
	v_ldexp_f32 v21, v21, v29
	v_cndmask_b32_e32 v19, 0, v19, vcc
	v_cmp_ngt_f32_e32 vcc, s1, v12
	v_mul_f32_e32 v25, 0x3fb8aa3b, v16
	v_fmac_f32_e32 v34, 0x32a5705f, v17
	v_sub_f32_e32 v24, v24, v35
	v_ldexp_f32 v22, v22, v31
	v_cndmask_b32_e32 v21, 0, v21, vcc
	v_cmp_ngt_f32_e32 vcc, s1, v15
	v_fma_f32 v36, v16, s0, -v25
	v_rndne_f32_e32 v37, v25
	v_add_f32_e32 v24, v24, v34
	v_ldexp_f32 v23, v23, v33
	v_cndmask_b32_e32 v22, 0, v22, vcc
	v_cmp_ngt_f32_e32 vcc, s1, v14
	v_cvt_i32_f32_e32 v35, v35
	v_fmac_f32_e32 v36, 0x32a5705f, v16
	v_sub_f32_e32 v25, v25, v37
	v_exp_f32_e32 v24, v24
	v_cndmask_b32_e32 v23, 0, v23, vcc
	v_cmp_nlt_f32_e32 vcc, s2, v13
	v_add_f32_e32 v25, v25, v36
	v_cndmask_b32_e32 v13, v20, v19, vcc
	v_cmp_nlt_f32_e32 vcc, s2, v12
	v_cvt_i32_f32_e32 v37, v37
	v_exp_f32_e32 v25, v25
	v_cndmask_b32_e32 v12, v20, v21, vcc
	v_cmp_nlt_f32_e32 vcc, s2, v15
	v_cndmask_b32_e32 v15, v20, v22, vcc
	v_cmp_nlt_f32_e32 vcc, s2, v14
	v_ldexp_f32 v24, v24, v35
	v_cndmask_b32_e32 v14, v20, v23, vcc
	v_cmp_ngt_f32_e32 vcc, s1, v17
	v_cndmask_b32_e32 v19, 0, v24, vcc
	v_cmp_nlt_f32_e32 vcc, s2, v17
	v_cndmask_b32_e32 v17, v20, v19, vcc
	v_ldexp_f32 v19, v25, v37
	v_pk_add_f32 v[10:11], v[10:11], v[18:19] op_sel_hi:[1,0] neg_lo:[0,1] neg_hi:[0,1]
	v_mul_f32_e32 v18, 0x3fb8aa3b, v11
	v_fma_f32 v21, v11, s0, -v18
	v_rndne_f32_e32 v22, v18
	v_fmac_f32_e32 v21, 0x32a5705f, v11
	v_sub_f32_e32 v18, v18, v22
	v_add_f32_e32 v18, v18, v21
	v_exp_f32_e32 v18, v18
	v_cvt_i32_f32_e32 v21, v22
	v_cmp_ngt_f32_e32 vcc, s1, v16
	v_cndmask_b32_e32 v19, 0, v19, vcc
	v_cmp_nlt_f32_e32 vcc, s2, v16
	v_cndmask_b32_e32 v16, v20, v19, vcc
	v_mul_f32_e32 v19, 0x3fb8aa3b, v10
	v_ldexp_f32 v18, v18, v21
	v_fma_f32 v21, v10, s0, -v19
	v_rndne_f32_e32 v22, v19
	v_fmac_f32_e32 v21, 0x32a5705f, v10
	v_sub_f32_e32 v19, v19, v22
	v_add_f32_e32 v19, v19, v21
	v_exp_f32_e32 v19, v19
	v_cvt_i32_f32_e32 v21, v22
	v_cmp_ngt_f32_e32 vcc, s1, v11
	v_cndmask_b32_e32 v18, 0, v18, vcc
	v_cmp_nlt_f32_e32 vcc, s2, v11
	v_cndmask_b32_e32 v11, v20, v18, vcc
	v_ldexp_f32 v18, v19, v21
	v_cmp_ngt_f32_e32 vcc, s1, v10
	v_cndmask_b32_e32 v18, 0, v18, vcc
	v_cmp_nlt_f32_e32 vcc, s2, v10
	v_cndmask_b32_e32 v10, v20, v18, vcc
	v_add_f32_e32 v18, v10, v11
	v_add_f32_e32 v18, v18, v12
	;; [unrolled: 1-line block ×7, first 2 shown]
	ds_bpermute_b32 v19, v3, v18
	s_load_dwordx2 s[0:1], s[4:5], 0x4
	s_load_dwordx4 s[8:11], s[6:7], 0x30
	s_waitcnt lgkmcnt(0)
	s_mov_b32 s11, 0
	v_add_f32_e32 v18, v18, v19
	ds_bpermute_b32 v19, v4, v18
	s_lshr_b32 s0, s0, 16
	s_mul_i32 s0, s0, s1
	v_mul_u32_u24_e32 v9, s1, v9
	v_mad_u32_u24 v8, s0, v8, v9
	s_waitcnt lgkmcnt(0)
	v_add_f32_e32 v18, v18, v19
	ds_bpermute_b32 v19, v5, v18
	v_add_lshl_u32 v0, v8, v0, 5
	s_cmp_lt_i32 s8, 1
	s_waitcnt lgkmcnt(0)
	v_add_f32_e32 v18, v18, v19
	ds_bpermute_b32 v19, v6, v18
	s_waitcnt lgkmcnt(0)
	v_add_f32_e32 v18, v18, v19
	ds_bpermute_b32 v19, v7, v18
	s_waitcnt lgkmcnt(0)
	v_add_f32_e32 v9, v18, v19
	v_div_scale_f32 v18, s[0:1], v9, v9, 1.0
	v_rcp_f32_e32 v19, v18
	v_fma_f32 v8, -v18, v19, 1.0
	v_fmac_f32_e32 v19, v8, v19
	v_div_scale_f32 v8, vcc, 1.0, v9, 1.0
	v_mul_f32_e32 v20, v8, v19
	v_fma_f32 v21, -v18, v20, v8
	v_fmac_f32_e32 v20, v21, v19
	v_fma_f32 v8, -v18, v20, v8
	v_div_fmas_f32 v8, v8, v19, v20
	v_div_fixup_f32 v18, v8, v9, 1.0
	v_pk_mul_f32 v[8:9], v[18:19], v[10:11] op_sel_hi:[0,1]
	v_pk_mul_f32 v[10:11], v[18:19], v[12:13] op_sel_hi:[0,1]
	ds_write_b128 v0, v[8:11]
	v_pk_mul_f32 v[8:9], v[18:19], v[14:15] op_sel_hi:[0,1]
	v_pk_mul_f32 v[10:11], v[18:19], v[16:17] op_sel_hi:[0,1]
	ds_write_b128 v0, v[8:11] offset:16
	s_cbranch_scc1 .LBB17_31
; %bb.5:
	s_load_dwordx4 s[4:7], s[6:7], 0x20
	v_lshlrev_b32_e32 v8, 2, v2
	v_cmp_eq_u32_e32 vcc, 0, v2
	v_mul_lo_u32 v9, v1, s8
	v_mov_b32_e32 v10, 0xc61c4000
	v_mov_b32_e32 v11, 0x80
	;; [unrolled: 1-line block ×6, first 2 shown]
	s_branch .LBB17_7
.LBB17_6:                               ;   in Loop: Header=BB17_7 Depth=1
	s_or_b64 exec, exec, s[0:1]
	s_cmp_lg_u32 s8, s11
	v_add_u32_e32 v1, s20, v1
	s_cbranch_scc0 .LBB17_31
.LBB17_7:                               ; =>This Inner Loop Header: Depth=1
	ds_read_b128 v[16:19], v0
	ds_read_b128 v[20:23], v0 offset:16
	s_waitcnt lgkmcnt(0)
	v_cmp_gt_f32_e64 s[0:1], v17, v16
	v_cndmask_b32_e64 v16, v16, v17, s[0:1]
	v_cndmask_b32_e64 v17, 0, 1, s[0:1]
	v_cmp_gt_f32_e64 s[0:1], v18, v16
	v_cndmask_b32_e64 v16, v16, v18, s[0:1]
	v_cndmask_b32_e64 v17, v17, 2, s[0:1]
	;; [unrolled: 3-line block ×7, first 2 shown]
	ds_bpermute_b32 v18, v3, v17
	v_or_b32_e32 v16, v8, v16
	ds_bpermute_b32 v19, v3, v16
	s_waitcnt lgkmcnt(1)
	v_cmp_lt_f32_e64 s[16:17], v17, v18
	v_cmp_nlt_f32_e64 s[0:1], v17, v18
	s_and_saveexec_b64 s[18:19], s[0:1]
	s_cbranch_execz .LBB17_9
; %bb.8:                                ;   in Loop: Header=BB17_7 Depth=1
	v_cmp_eq_f32_e64 s[0:1], v17, v18
	s_waitcnt lgkmcnt(0)
	v_cmp_lt_i32_e64 s[2:3], v19, v16
	s_and_b64 s[0:1], s[0:1], s[2:3]
	s_andn2_b64 s[2:3], s[16:17], exec
	s_and_b64 s[0:1], s[0:1], exec
	s_or_b64 s[16:17], s[2:3], s[0:1]
.LBB17_9:                               ;   in Loop: Header=BB17_7 Depth=1
	s_or_b64 exec, exec, s[18:19]
	s_and_saveexec_b64 s[0:1], s[16:17]
	s_cbranch_execz .LBB17_11
; %bb.10:                               ;   in Loop: Header=BB17_7 Depth=1
	v_mov_b32_e32 v17, v18
	s_waitcnt lgkmcnt(0)
	v_mov_b32_e32 v16, v19
.LBB17_11:                              ;   in Loop: Header=BB17_7 Depth=1
	s_or_b64 exec, exec, s[0:1]
	s_waitcnt lgkmcnt(0)
	ds_bpermute_b32 v19, v4, v17
	ds_bpermute_b32 v18, v4, v16
	s_waitcnt lgkmcnt(1)
	v_cmp_lt_f32_e64 s[16:17], v17, v19
	v_cmp_nlt_f32_e64 s[0:1], v17, v19
	s_and_saveexec_b64 s[18:19], s[0:1]
	s_cbranch_execz .LBB17_13
; %bb.12:                               ;   in Loop: Header=BB17_7 Depth=1
	v_cmp_eq_f32_e64 s[0:1], v17, v19
	s_waitcnt lgkmcnt(0)
	v_cmp_lt_i32_e64 s[2:3], v18, v16
	s_and_b64 s[0:1], s[0:1], s[2:3]
	s_andn2_b64 s[2:3], s[16:17], exec
	s_and_b64 s[0:1], s[0:1], exec
	s_or_b64 s[16:17], s[2:3], s[0:1]
.LBB17_13:                              ;   in Loop: Header=BB17_7 Depth=1
	s_or_b64 exec, exec, s[18:19]
	s_and_saveexec_b64 s[0:1], s[16:17]
	s_cbranch_execz .LBB17_15
; %bb.14:                               ;   in Loop: Header=BB17_7 Depth=1
	v_mov_b32_e32 v17, v19
	s_waitcnt lgkmcnt(0)
	v_mov_b32_e32 v16, v18
.LBB17_15:                              ;   in Loop: Header=BB17_7 Depth=1
	s_or_b64 exec, exec, s[0:1]
	ds_bpermute_b32 v19, v5, v17
	s_waitcnt lgkmcnt(1)
	ds_bpermute_b32 v18, v5, v16
	s_waitcnt lgkmcnt(1)
	v_cmp_lt_f32_e64 s[16:17], v17, v19
	v_cmp_nlt_f32_e64 s[0:1], v17, v19
	s_and_saveexec_b64 s[18:19], s[0:1]
	s_cbranch_execz .LBB17_17
; %bb.16:                               ;   in Loop: Header=BB17_7 Depth=1
	v_cmp_eq_f32_e64 s[0:1], v17, v19
	s_waitcnt lgkmcnt(0)
	v_cmp_lt_i32_e64 s[2:3], v18, v16
	s_and_b64 s[0:1], s[0:1], s[2:3]
	s_andn2_b64 s[2:3], s[16:17], exec
	s_and_b64 s[0:1], s[0:1], exec
	s_or_b64 s[16:17], s[2:3], s[0:1]
.LBB17_17:                              ;   in Loop: Header=BB17_7 Depth=1
	s_or_b64 exec, exec, s[18:19]
	s_and_saveexec_b64 s[0:1], s[16:17]
	s_cbranch_execz .LBB17_19
; %bb.18:                               ;   in Loop: Header=BB17_7 Depth=1
	v_mov_b32_e32 v17, v19
	s_waitcnt lgkmcnt(0)
	v_mov_b32_e32 v16, v18
.LBB17_19:                              ;   in Loop: Header=BB17_7 Depth=1
	s_or_b64 exec, exec, s[0:1]
	ds_bpermute_b32 v19, v6, v17
	s_waitcnt lgkmcnt(1)
	ds_bpermute_b32 v18, v6, v16
	s_waitcnt lgkmcnt(1)
	v_cmp_lt_f32_e64 s[16:17], v17, v19
	v_cmp_nlt_f32_e64 s[0:1], v17, v19
	s_and_saveexec_b64 s[18:19], s[0:1]
	s_cbranch_execz .LBB17_21
; %bb.20:                               ;   in Loop: Header=BB17_7 Depth=1
	v_cmp_eq_f32_e64 s[0:1], v17, v19
	s_waitcnt lgkmcnt(0)
	v_cmp_lt_i32_e64 s[2:3], v18, v16
	s_and_b64 s[0:1], s[0:1], s[2:3]
	s_andn2_b64 s[2:3], s[16:17], exec
	s_and_b64 s[0:1], s[0:1], exec
	s_or_b64 s[16:17], s[2:3], s[0:1]
.LBB17_21:                              ;   in Loop: Header=BB17_7 Depth=1
	s_or_b64 exec, exec, s[18:19]
	s_and_saveexec_b64 s[0:1], s[16:17]
	s_cbranch_execz .LBB17_23
; %bb.22:                               ;   in Loop: Header=BB17_7 Depth=1
	v_mov_b32_e32 v17, v19
	s_waitcnt lgkmcnt(0)
	v_mov_b32_e32 v16, v18
.LBB17_23:                              ;   in Loop: Header=BB17_7 Depth=1
	s_or_b64 exec, exec, s[0:1]
	s_waitcnt lgkmcnt(0)
	ds_bpermute_b32 v18, v7, v17
	ds_bpermute_b32 v19, v7, v16
	s_waitcnt lgkmcnt(1)
	v_cmp_lt_f32_e64 s[16:17], v17, v18
	v_cmp_nlt_f32_e64 s[0:1], v17, v18
	s_and_saveexec_b64 s[18:19], s[0:1]
	s_cbranch_execnz .LBB17_29
; %bb.24:                               ;   in Loop: Header=BB17_7 Depth=1
	s_or_b64 exec, exec, s[18:19]
	s_and_saveexec_b64 s[0:1], s[16:17]
	s_cbranch_execnz .LBB17_30
.LBB17_25:                              ;   in Loop: Header=BB17_7 Depth=1
	s_or_b64 exec, exec, s[0:1]
	s_and_saveexec_b64 s[16:17], vcc
	s_cbranch_execz .LBB17_27
.LBB17_26:                              ;   in Loop: Header=BB17_7 Depth=1
	v_add_u32_e32 v18, s11, v9
	s_waitcnt lgkmcnt(0)
	v_ashrrev_i32_e32 v19, 31, v18
	v_cmp_le_i32_e64 s[0:1], s9, v16
	v_cmp_gt_i32_e64 s[2:3], s10, v16
	v_lshlrev_b64 v[18:19], 2, v[18:19]
	s_and_b64 s[2:3], s[0:1], s[2:3]
	v_mov_b32_e32 v21, s13
	v_add_co_u32_e64 v20, s[0:1], s12, v18
	v_addc_co_u32_e64 v21, s[0:1], v21, v19, s[0:1]
	global_store_dword v[20:21], v17, off
	v_subrev_u32_e32 v17, s9, v16
	s_and_b64 s[0:1], s[14:15], s[2:3]
	v_cndmask_b32_e64 v17, v15, v17, s[0:1]
	v_mov_b32_e32 v21, s5
	v_add_co_u32_e64 v20, s[0:1], s4, v18
	v_addc_co_u32_e64 v21, s[0:1], v21, v19, s[0:1]
	global_store_dword v[20:21], v17, off
	v_mov_b32_e32 v17, s7
	v_add_co_u32_e64 v18, s[0:1], s6, v18
	v_addc_co_u32_e64 v19, s[0:1], v17, v19, s[0:1]
	global_store_dword v[18:19], v1, off
.LBB17_27:                              ;   in Loop: Header=BB17_7 Depth=1
	s_or_b64 exec, exec, s[16:17]
	v_ashrrev_i32_e32 v18, 31, v16
	v_lshrrev_b32_e32 v17, 30, v18
	s_waitcnt lgkmcnt(0)
	v_add_u32_e32 v19, v16, v17
	v_ashrrev_i32_e32 v17, 2, v19
	v_ashrrev_i32_e32 v19, 31, v19
	v_lshrrev_b32_e32 v19, 27, v19
	v_add_u32_e32 v19, v17, v19
	s_add_i32 s11, s11, 1
	v_and_b32_e32 v19, 0xffffffe0, v19
	s_cmp_lt_i32 s11, s8
	v_sub_u32_e32 v19, v17, v19
	s_cselect_b64 s[2:3], -1, 0
	v_cmp_eq_u32_e64 s[0:1], v2, v19
	s_and_b64 s[2:3], s[2:3], s[0:1]
	s_and_saveexec_b64 s[0:1], s[2:3]
	s_cbranch_execz .LBB17_6
; %bb.28:                               ;   in Loop: Header=BB17_7 Depth=1
	v_lshrrev_b32_e32 v18, 25, v18
	v_add_u32_e32 v18, v16, v18
	v_lshlrev_b32_e32 v17, 2, v17
	v_ashrrev_i32_e32 v18, 7, v18
	v_sub_u32_e32 v16, v16, v17
	v_lshl_add_u32 v16, v18, 2, v16
	v_lshl_add_u32 v16, v16, 2, v0
	ds_write_b32 v16, v10
	s_branch .LBB17_6
.LBB17_29:                              ;   in Loop: Header=BB17_7 Depth=1
	v_cmp_eq_f32_e64 s[0:1], v17, v18
	s_waitcnt lgkmcnt(0)
	v_cmp_lt_i32_e64 s[2:3], v19, v16
	s_and_b64 s[0:1], s[0:1], s[2:3]
	s_andn2_b64 s[2:3], s[16:17], exec
	s_and_b64 s[0:1], s[0:1], exec
	s_or_b64 s[16:17], s[2:3], s[0:1]
	s_or_b64 exec, exec, s[18:19]
	s_and_saveexec_b64 s[0:1], s[16:17]
	s_cbranch_execz .LBB17_25
.LBB17_30:                              ;   in Loop: Header=BB17_7 Depth=1
	v_mov_b32_e32 v17, v18
	s_waitcnt lgkmcnt(0)
	v_mov_b32_e32 v16, v19
	s_or_b64 exec, exec, s[0:1]
	s_and_saveexec_b64 s[16:17], vcc
	s_cbranch_execnz .LBB17_26
	s_branch .LBB17_27
.LBB17_31:
	s_endpgm
	.section	.rodata,"a",@progbits
	.p2align	6, 0x0
	.amdhsa_kernel _ZN4vllm3moe17topkGatingSoftmaxILi8ELi256ELi4ELi16ELi32EiEEvPKfPKbPfiPT4_Piiii
		.amdhsa_group_segment_fixed_size 4096
		.amdhsa_private_segment_fixed_size 0
		.amdhsa_kernarg_size 60
		.amdhsa_user_sgpr_count 8
		.amdhsa_user_sgpr_private_segment_buffer 1
		.amdhsa_user_sgpr_dispatch_ptr 1
		.amdhsa_user_sgpr_queue_ptr 0
		.amdhsa_user_sgpr_kernarg_segment_ptr 1
		.amdhsa_user_sgpr_dispatch_id 0
		.amdhsa_user_sgpr_flat_scratch_init 0
		.amdhsa_user_sgpr_kernarg_preload_length 0
		.amdhsa_user_sgpr_kernarg_preload_offset 0
		.amdhsa_user_sgpr_private_segment_size 0
		.amdhsa_uses_dynamic_stack 0
		.amdhsa_system_sgpr_private_segment_wavefront_offset 0
		.amdhsa_system_sgpr_workgroup_id_x 1
		.amdhsa_system_sgpr_workgroup_id_y 0
		.amdhsa_system_sgpr_workgroup_id_z 0
		.amdhsa_system_sgpr_workgroup_info 0
		.amdhsa_system_vgpr_workitem_id 2
		.amdhsa_next_free_vgpr 38
		.amdhsa_next_free_sgpr 21
		.amdhsa_accum_offset 40
		.amdhsa_reserve_vcc 1
		.amdhsa_reserve_flat_scratch 0
		.amdhsa_float_round_mode_32 0
		.amdhsa_float_round_mode_16_64 0
		.amdhsa_float_denorm_mode_32 3
		.amdhsa_float_denorm_mode_16_64 3
		.amdhsa_dx10_clamp 1
		.amdhsa_ieee_mode 1
		.amdhsa_fp16_overflow 0
		.amdhsa_tg_split 0
		.amdhsa_exception_fp_ieee_invalid_op 0
		.amdhsa_exception_fp_denorm_src 0
		.amdhsa_exception_fp_ieee_div_zero 0
		.amdhsa_exception_fp_ieee_overflow 0
		.amdhsa_exception_fp_ieee_underflow 0
		.amdhsa_exception_fp_ieee_inexact 0
		.amdhsa_exception_int_div_zero 0
	.end_amdhsa_kernel
	.section	.text._ZN4vllm3moe17topkGatingSoftmaxILi8ELi256ELi4ELi16ELi32EiEEvPKfPKbPfiPT4_Piiii,"axG",@progbits,_ZN4vllm3moe17topkGatingSoftmaxILi8ELi256ELi4ELi16ELi32EiEEvPKfPKbPfiPT4_Piiii,comdat
.Lfunc_end17:
	.size	_ZN4vllm3moe17topkGatingSoftmaxILi8ELi256ELi4ELi16ELi32EiEEvPKfPKbPfiPT4_Piiii, .Lfunc_end17-_ZN4vllm3moe17topkGatingSoftmaxILi8ELi256ELi4ELi16ELi32EiEEvPKfPKbPfiPT4_Piiii
                                        ; -- End function
	.section	.AMDGPU.csdata,"",@progbits
; Kernel info:
; codeLenInByte = 2496
; NumSgprs: 25
; NumVgprs: 38
; NumAgprs: 0
; TotalNumVgprs: 38
; ScratchSize: 0
; MemoryBound: 0
; FloatMode: 240
; IeeeMode: 1
; LDSByteSize: 4096 bytes/workgroup (compile time only)
; SGPRBlocks: 3
; VGPRBlocks: 4
; NumSGPRsForWavesPerEU: 25
; NumVGPRsForWavesPerEU: 38
; AccumOffset: 40
; Occupancy: 8
; WaveLimiterHint : 0
; COMPUTE_PGM_RSRC2:SCRATCH_EN: 0
; COMPUTE_PGM_RSRC2:USER_SGPR: 8
; COMPUTE_PGM_RSRC2:TRAP_HANDLER: 0
; COMPUTE_PGM_RSRC2:TGID_X_EN: 1
; COMPUTE_PGM_RSRC2:TGID_Y_EN: 0
; COMPUTE_PGM_RSRC2:TGID_Z_EN: 0
; COMPUTE_PGM_RSRC2:TIDIG_COMP_CNT: 2
; COMPUTE_PGM_RSRC3_GFX90A:ACCUM_OFFSET: 9
; COMPUTE_PGM_RSRC3_GFX90A:TG_SPLIT: 0
	.section	.text._ZN4vllm3moe17topkGatingSoftmaxILi8ELi512ELi4ELi16ELi64EiEEvPKfPKbPfiPT4_Piiii,"axG",@progbits,_ZN4vllm3moe17topkGatingSoftmaxILi8ELi512ELi4ELi16ELi64EiEEvPKfPKbPfiPT4_Piiii,comdat
	.protected	_ZN4vllm3moe17topkGatingSoftmaxILi8ELi512ELi4ELi16ELi64EiEEvPKfPKbPfiPT4_Piiii ; -- Begin function _ZN4vllm3moe17topkGatingSoftmaxILi8ELi512ELi4ELi16ELi64EiEEvPKfPKbPfiPT4_Piiii
	.globl	_ZN4vllm3moe17topkGatingSoftmaxILi8ELi512ELi4ELi16ELi64EiEEvPKfPKbPfiPT4_Piiii
	.p2align	8
	.type	_ZN4vllm3moe17topkGatingSoftmaxILi8ELi512ELi4ELi16ELi64EiEEvPKfPKbPfiPT4_Piiii,@function
_ZN4vllm3moe17topkGatingSoftmaxILi8ELi512ELi4ELi16ELi64EiEEvPKfPKbPfiPT4_Piiii: ; @_ZN4vllm3moe17topkGatingSoftmaxILi8ELi512ELi4ELi16ELi64EiEEvPKfPKbPfiPT4_Piiii
; %bb.0:
	s_load_dword s20, s[6:7], 0x18
	v_and_b32_e32 v13, 0x3ff, v0
	v_bfe_u32 v14, v0, 10, 10
	s_lshl_b32 s0, s8, 2
	v_lshrrev_b32_e32 v1, 6, v13
	v_add3_u32 v1, s0, v14, v1
	s_waitcnt lgkmcnt(0)
	v_cmp_gt_i32_e32 vcc, s20, v1
	s_and_saveexec_b64 s[0:1], vcc
	s_cbranch_execz .LBB18_35
; %bb.1:
	s_load_dwordx4 s[0:3], s[6:7], 0x0
	s_load_dwordx2 s[12:13], s[6:7], 0x10
	s_waitcnt lgkmcnt(0)
	s_cmp_eq_u64 s[2:3], 0
	s_cbranch_scc1 .LBB18_3
; %bb.2:
	v_ashrrev_i32_e32 v3, 31, v1
	v_mov_b32_e32 v4, s3
	v_add_co_u32_e32 v2, vcc, s2, v1
	v_addc_co_u32_e32 v3, vcc, v4, v3, vcc
	global_load_ubyte v2, v[2:3], off
	s_waitcnt vmcnt(0)
	v_and_b32_e32 v2, 1, v2
	v_cmp_eq_u32_e32 vcc, 1, v2
	s_xor_b64 s[2:3], vcc, -1
	s_orn2_b64 s[14:15], s[2:3], exec
	s_branch .LBB18_4
.LBB18_3:
	s_mov_b64 s[14:15], -1
.LBB18_4:
	v_lshlrev_b32_e32 v2, 9, v1
	v_ashrrev_i32_e32 v3, 31, v2
	v_lshlrev_b64 v[2:3], 2, v[2:3]
	v_mov_b32_e32 v4, s1
	v_add_co_u32_e32 v2, vcc, s0, v2
	v_and_b32_e32 v6, 63, v13
	v_addc_co_u32_e32 v3, vcc, v4, v3, vcc
	v_lshlrev_b32_e32 v4, 4, v6
	v_add_co_u32_e32 v8, vcc, v2, v4
	v_addc_co_u32_e32 v9, vcc, 0, v3, vcc
	global_load_dwordx4 v[2:5], v[8:9], off
	global_load_dwordx4 v[16:19], v[8:9], off offset:1024
	v_mbcnt_lo_u32_b32 v7, -1, 0
	v_mbcnt_hi_u32_b32 v12, -1, v7
	v_and_b32_e32 v7, 64, v12
	v_xor_b32_e32 v8, 32, v12
	v_add_u32_e32 v15, 64, v7
	v_cmp_lt_i32_e32 vcc, v8, v15
	v_cndmask_b32_e32 v7, v12, v8, vcc
	v_lshlrev_b32_e32 v7, 2, v7
	v_xor_b32_e32 v22, 1, v12
	s_mov_b32 s0, 0x3fb8aa3b
	s_mov_b32 s1, 0xc2ce8ed0
	s_mov_b32 s2, 0x42b17218
	v_bfe_u32 v0, v0, 20, 10
	s_waitcnt vmcnt(1)
	v_max_f32_e32 v8, v3, v3
	v_max_f32_e32 v9, v2, v2
	;; [unrolled: 1-line block ×3, first 2 shown]
	v_max3_f32 v8, v8, v4, v5
	s_waitcnt vmcnt(0)
	v_max3_f32 v8, v8, v16, v17
	v_max3_f32 v9, v8, v18, v19
	ds_bpermute_b32 v10, v7, v9
	v_xor_b32_e32 v8, 16, v12
	v_cmp_lt_i32_e32 vcc, v8, v15
	v_cndmask_b32_e32 v8, v12, v8, vcc
	v_lshlrev_b32_e32 v8, 2, v8
	s_waitcnt lgkmcnt(0)
	v_max_f32_e32 v10, v10, v10
	v_max_f32_e32 v10, v9, v10
	ds_bpermute_b32 v11, v8, v10
	v_xor_b32_e32 v9, 8, v12
	v_cmp_lt_i32_e32 vcc, v9, v15
	v_cndmask_b32_e32 v9, v12, v9, vcc
	v_lshlrev_b32_e32 v9, 2, v9
	s_waitcnt lgkmcnt(0)
	v_max_f32_e32 v11, v11, v11
	v_max_f32_e32 v11, v10, v11
	;; [unrolled: 8-line block ×4, first 2 shown]
	ds_bpermute_b32 v21, v11, v20
	v_cmp_lt_i32_e32 vcc, v22, v15
	v_cndmask_b32_e32 v12, v12, v22, vcc
	v_lshlrev_b32_e32 v12, 2, v12
	s_waitcnt lgkmcnt(0)
	v_max_f32_e32 v15, v21, v21
	v_max_f32_e32 v15, v20, v15
	ds_bpermute_b32 v20, v12, v15
	v_mov_b32_e32 v21, 0x7f800000
	s_waitcnt lgkmcnt(0)
	v_max_f32_e32 v20, v20, v20
	v_max_f32_e32 v20, v15, v20
	v_pk_add_f32 v[4:5], v[4:5], v[20:21] op_sel_hi:[1,0] neg_lo:[0,1] neg_hi:[0,1]
	v_mul_f32_e32 v15, 0x3fb8aa3b, v5
	v_pk_add_f32 v[16:17], v[16:17], v[20:21] op_sel_hi:[1,0] neg_lo:[0,1] neg_hi:[0,1]
	v_mul_f32_e32 v22, 0x3fb8aa3b, v4
	v_fma_f32 v27, v5, s0, -v15
	v_rndne_f32_e32 v28, v15
	v_mul_f32_e32 v23, 0x3fb8aa3b, v17
	v_fma_f32 v29, v4, s0, -v22
	v_rndne_f32_e32 v30, v22
	v_fmac_f32_e32 v27, 0x32a5705f, v5
	v_sub_f32_e32 v15, v15, v28
	v_mul_f32_e32 v24, 0x3fb8aa3b, v16
	v_fma_f32 v31, v17, s0, -v23
	v_rndne_f32_e32 v32, v23
	v_fmac_f32_e32 v29, 0x32a5705f, v4
	v_sub_f32_e32 v22, v22, v30
	v_add_f32_e32 v15, v15, v27
	v_fma_f32 v33, v16, s0, -v24
	v_rndne_f32_e32 v34, v24
	v_cvt_i32_f32_e32 v28, v28
	v_fmac_f32_e32 v31, 0x32a5705f, v17
	v_sub_f32_e32 v23, v23, v32
	v_add_f32_e32 v22, v22, v29
	v_exp_f32_e32 v15, v15
	v_cvt_i32_f32_e32 v30, v30
	v_fmac_f32_e32 v33, 0x32a5705f, v16
	v_sub_f32_e32 v24, v24, v34
	v_add_f32_e32 v23, v23, v31
	v_exp_f32_e32 v22, v22
	v_cvt_i32_f32_e32 v32, v32
	v_add_f32_e32 v24, v24, v33
	v_exp_f32_e32 v23, v23
	v_cvt_i32_f32_e32 v34, v34
	v_exp_f32_e32 v24, v24
	v_ldexp_f32 v15, v15, v28
	v_cmp_ngt_f32_e32 vcc, s1, v5
	v_pk_add_f32 v[18:19], v[18:19], v[20:21] op_sel_hi:[1,0] neg_lo:[0,1] neg_hi:[0,1]
	v_ldexp_f32 v22, v22, v30
	v_cndmask_b32_e32 v15, 0, v15, vcc
	v_cmp_ngt_f32_e32 vcc, s1, v4
	v_mul_f32_e32 v25, 0x3fb8aa3b, v19
	v_ldexp_f32 v23, v23, v32
	v_cndmask_b32_e32 v22, 0, v22, vcc
	v_cmp_ngt_f32_e32 vcc, s1, v17
	v_fma_f32 v35, v19, s0, -v25
	v_rndne_f32_e32 v36, v25
	v_ldexp_f32 v24, v24, v34
	v_cndmask_b32_e32 v23, 0, v23, vcc
	v_cmp_ngt_f32_e32 vcc, s1, v16
	v_mul_f32_e32 v26, 0x3fb8aa3b, v18
	v_fmac_f32_e32 v35, 0x32a5705f, v19
	v_sub_f32_e32 v25, v25, v36
	v_cndmask_b32_e32 v24, 0, v24, vcc
	v_cmp_nlt_f32_e32 vcc, s2, v5
	v_fma_f32 v37, v18, s0, -v26
	v_rndne_f32_e32 v38, v26
	v_add_f32_e32 v25, v25, v35
	v_cndmask_b32_e32 v5, v21, v15, vcc
	v_cmp_nlt_f32_e32 vcc, s2, v4
	v_pk_add_f32 v[2:3], v[2:3], v[20:21] op_sel_hi:[1,0] neg_lo:[0,1] neg_hi:[0,1]
	v_cvt_i32_f32_e32 v36, v36
	v_fmac_f32_e32 v37, 0x32a5705f, v18
	v_sub_f32_e32 v26, v26, v38
	v_exp_f32_e32 v25, v25
	v_cndmask_b32_e32 v4, v21, v22, vcc
	v_cmp_nlt_f32_e32 vcc, s2, v17
	v_mul_f32_e32 v20, 0x3fb8aa3b, v3
	v_add_f32_e32 v26, v26, v37
	v_cndmask_b32_e32 v17, v21, v23, vcc
	v_fma_f32 v22, v3, s0, -v20
	v_rndne_f32_e32 v23, v20
	v_cvt_i32_f32_e32 v38, v38
	v_exp_f32_e32 v26, v26
	v_fmac_f32_e32 v22, 0x32a5705f, v3
	v_sub_f32_e32 v20, v20, v23
	v_cmp_nlt_f32_e32 vcc, s2, v16
	v_add_f32_e32 v20, v20, v22
	v_ldexp_f32 v25, v25, v36
	v_cndmask_b32_e32 v16, v21, v24, vcc
	v_cmp_ngt_f32_e32 vcc, s1, v19
	v_exp_f32_e32 v20, v20
	v_cvt_i32_f32_e32 v22, v23
	v_cndmask_b32_e32 v15, 0, v25, vcc
	v_cmp_nlt_f32_e32 vcc, s2, v19
	v_cndmask_b32_e32 v19, v21, v15, vcc
	v_ldexp_f32 v15, v26, v38
	v_cmp_ngt_f32_e32 vcc, s1, v18
	v_cndmask_b32_e32 v15, 0, v15, vcc
	v_cmp_nlt_f32_e32 vcc, s2, v18
	v_cndmask_b32_e32 v18, v21, v15, vcc
	v_ldexp_f32 v15, v20, v22
	v_mul_f32_e32 v20, 0x3fb8aa3b, v2
	v_fma_f32 v22, v2, s0, -v20
	v_rndne_f32_e32 v23, v20
	v_fmac_f32_e32 v22, 0x32a5705f, v2
	v_sub_f32_e32 v20, v20, v23
	v_add_f32_e32 v20, v20, v22
	v_exp_f32_e32 v20, v20
	v_cvt_i32_f32_e32 v22, v23
	v_cmp_ngt_f32_e32 vcc, s1, v3
	v_cndmask_b32_e32 v15, 0, v15, vcc
	v_cmp_nlt_f32_e32 vcc, s2, v3
	v_cndmask_b32_e32 v3, v21, v15, vcc
	v_ldexp_f32 v15, v20, v22
	v_cmp_ngt_f32_e32 vcc, s1, v2
	v_cndmask_b32_e32 v15, 0, v15, vcc
	v_cmp_nlt_f32_e32 vcc, s2, v2
	v_cndmask_b32_e32 v2, v21, v15, vcc
	v_add_f32_e32 v15, v2, v3
	v_add_f32_e32 v15, v15, v4
	;; [unrolled: 1-line block ×7, first 2 shown]
	ds_bpermute_b32 v20, v7, v15
	s_load_dwordx2 s[0:1], s[4:5], 0x4
	s_load_dwordx4 s[8:11], s[6:7], 0x30
	s_waitcnt lgkmcnt(0)
	s_mov_b32 s11, 0
	v_add_f32_e32 v15, v15, v20
	ds_bpermute_b32 v20, v8, v15
	s_lshr_b32 s0, s0, 16
	s_mul_i32 s0, s0, s1
	v_mul_lo_u32 v13, s0, v13
	v_mad_u32_u24 v13, v14, s1, v13
	s_waitcnt lgkmcnt(0)
	v_add_f32_e32 v15, v15, v20
	ds_bpermute_b32 v20, v9, v15
	v_add_lshl_u32 v0, v13, v0, 5
	s_cmp_lt_i32 s8, 1
	s_waitcnt lgkmcnt(0)
	v_add_f32_e32 v15, v15, v20
	ds_bpermute_b32 v20, v10, v15
	s_waitcnt lgkmcnt(0)
	v_add_f32_e32 v15, v15, v20
	ds_bpermute_b32 v20, v11, v15
	;; [unrolled: 3-line block ×3, first 2 shown]
	s_waitcnt lgkmcnt(0)
	v_add_f32_e32 v14, v15, v20
	v_div_scale_f32 v15, s[0:1], v14, v14, 1.0
	v_rcp_f32_e32 v20, v15
	v_fma_f32 v13, -v15, v20, 1.0
	v_fmac_f32_e32 v20, v13, v20
	v_div_scale_f32 v13, vcc, 1.0, v14, 1.0
	v_mul_f32_e32 v21, v13, v20
	v_fma_f32 v22, -v15, v21, v13
	v_fmac_f32_e32 v21, v22, v20
	v_fma_f32 v13, -v15, v21, v13
	v_div_fmas_f32 v13, v13, v20, v21
	v_div_fixup_f32 v14, v13, v14, 1.0
	v_pk_mul_f32 v[2:3], v[14:15], v[2:3] op_sel_hi:[0,1]
	v_pk_mul_f32 v[4:5], v[14:15], v[4:5] op_sel_hi:[0,1]
	ds_write_b128 v0, v[2:5]
	v_pk_mul_f32 v[2:3], v[14:15], v[16:17] op_sel_hi:[0,1]
	v_pk_mul_f32 v[4:5], v[14:15], v[18:19] op_sel_hi:[0,1]
	ds_write_b128 v0, v[2:5] offset:16
	s_cbranch_scc1 .LBB18_35
; %bb.5:
	s_load_dwordx4 s[4:7], s[6:7], 0x20
	v_lshlrev_b32_e32 v2, 2, v6
	v_cmp_eq_u32_e32 vcc, 0, v6
	v_mul_lo_u32 v3, v1, s8
	v_mov_b32_e32 v4, 0xc61c4000
	v_mov_b32_e32 v5, 0x100
	v_mov_b32_e32 v13, 0x101
	v_bfrev_b32_e32 v14, 4.0
	v_bfrev_b32_e32 v15, -4.0
	v_mov_b32_e32 v16, 0x200
	s_branch .LBB18_7
.LBB18_6:                               ;   in Loop: Header=BB18_7 Depth=1
	s_or_b64 exec, exec, s[0:1]
	s_cmp_lg_u32 s8, s11
	v_add_u32_e32 v1, s20, v1
	s_cbranch_scc0 .LBB18_35
.LBB18_7:                               ; =>This Inner Loop Header: Depth=1
	ds_read_b128 v[18:21], v0
	ds_read_b128 v[22:25], v0 offset:16
	s_waitcnt lgkmcnt(0)
	v_cmp_gt_f32_e64 s[0:1], v19, v18
	v_cndmask_b32_e64 v17, v18, v19, s[0:1]
	v_cndmask_b32_e64 v18, 0, 1, s[0:1]
	v_cmp_gt_f32_e64 s[0:1], v20, v17
	v_cndmask_b32_e64 v17, v17, v20, s[0:1]
	v_cndmask_b32_e64 v18, v18, 2, s[0:1]
	v_cmp_gt_f32_e64 s[0:1], v21, v17
	v_cndmask_b32_e64 v17, v17, v21, s[0:1]
	v_cndmask_b32_e64 v18, v18, 3, s[0:1]
	v_cmp_gt_f32_e64 s[0:1], v22, v17
	v_cndmask_b32_e64 v17, v17, v22, s[0:1]
	v_cndmask_b32_e64 v18, v18, v5, s[0:1]
	v_cmp_gt_f32_e64 s[0:1], v23, v17
	v_cndmask_b32_e64 v17, v17, v23, s[0:1]
	v_cndmask_b32_e64 v18, v18, v13, s[0:1]
	v_cmp_gt_f32_e64 s[0:1], v24, v17
	v_cndmask_b32_e64 v17, v17, v24, s[0:1]
	v_cndmask_b32_e64 v19, v18, v14, s[0:1]
	v_cmp_gt_f32_e64 s[0:1], v25, v17
	v_cndmask_b32_e64 v18, v17, v25, s[0:1]
	v_cndmask_b32_e64 v17, v19, v15, s[0:1]
	ds_bpermute_b32 v19, v7, v18
	v_or_b32_e32 v17, v2, v17
	ds_bpermute_b32 v20, v7, v17
	s_waitcnt lgkmcnt(1)
	v_cmp_lt_f32_e64 s[16:17], v18, v19
	v_cmp_nlt_f32_e64 s[0:1], v18, v19
	s_and_saveexec_b64 s[18:19], s[0:1]
	s_cbranch_execz .LBB18_9
; %bb.8:                                ;   in Loop: Header=BB18_7 Depth=1
	v_cmp_eq_f32_e64 s[0:1], v18, v19
	s_waitcnt lgkmcnt(0)
	v_cmp_lt_i32_e64 s[2:3], v20, v17
	s_and_b64 s[0:1], s[0:1], s[2:3]
	s_andn2_b64 s[2:3], s[16:17], exec
	s_and_b64 s[0:1], s[0:1], exec
	s_or_b64 s[16:17], s[2:3], s[0:1]
.LBB18_9:                               ;   in Loop: Header=BB18_7 Depth=1
	s_or_b64 exec, exec, s[18:19]
	s_and_saveexec_b64 s[0:1], s[16:17]
	s_cbranch_execz .LBB18_11
; %bb.10:                               ;   in Loop: Header=BB18_7 Depth=1
	v_mov_b32_e32 v18, v19
	s_waitcnt lgkmcnt(0)
	v_mov_b32_e32 v17, v20
.LBB18_11:                              ;   in Loop: Header=BB18_7 Depth=1
	s_or_b64 exec, exec, s[0:1]
	s_waitcnt lgkmcnt(0)
	ds_bpermute_b32 v20, v8, v18
	ds_bpermute_b32 v19, v8, v17
	s_waitcnt lgkmcnt(1)
	v_cmp_lt_f32_e64 s[16:17], v18, v20
	v_cmp_nlt_f32_e64 s[0:1], v18, v20
	s_and_saveexec_b64 s[18:19], s[0:1]
	s_cbranch_execz .LBB18_13
; %bb.12:                               ;   in Loop: Header=BB18_7 Depth=1
	v_cmp_eq_f32_e64 s[0:1], v18, v20
	s_waitcnt lgkmcnt(0)
	v_cmp_lt_i32_e64 s[2:3], v19, v17
	s_and_b64 s[0:1], s[0:1], s[2:3]
	s_andn2_b64 s[2:3], s[16:17], exec
	s_and_b64 s[0:1], s[0:1], exec
	s_or_b64 s[16:17], s[2:3], s[0:1]
.LBB18_13:                              ;   in Loop: Header=BB18_7 Depth=1
	s_or_b64 exec, exec, s[18:19]
	s_and_saveexec_b64 s[0:1], s[16:17]
	s_cbranch_execz .LBB18_15
; %bb.14:                               ;   in Loop: Header=BB18_7 Depth=1
	v_mov_b32_e32 v18, v20
	s_waitcnt lgkmcnt(0)
	v_mov_b32_e32 v17, v19
.LBB18_15:                              ;   in Loop: Header=BB18_7 Depth=1
	s_or_b64 exec, exec, s[0:1]
	ds_bpermute_b32 v20, v9, v18
	s_waitcnt lgkmcnt(1)
	ds_bpermute_b32 v19, v9, v17
	s_waitcnt lgkmcnt(1)
	v_cmp_lt_f32_e64 s[16:17], v18, v20
	v_cmp_nlt_f32_e64 s[0:1], v18, v20
	s_and_saveexec_b64 s[18:19], s[0:1]
	s_cbranch_execz .LBB18_17
; %bb.16:                               ;   in Loop: Header=BB18_7 Depth=1
	v_cmp_eq_f32_e64 s[0:1], v18, v20
	s_waitcnt lgkmcnt(0)
	v_cmp_lt_i32_e64 s[2:3], v19, v17
	s_and_b64 s[0:1], s[0:1], s[2:3]
	s_andn2_b64 s[2:3], s[16:17], exec
	s_and_b64 s[0:1], s[0:1], exec
	s_or_b64 s[16:17], s[2:3], s[0:1]
.LBB18_17:                              ;   in Loop: Header=BB18_7 Depth=1
	s_or_b64 exec, exec, s[18:19]
	s_and_saveexec_b64 s[0:1], s[16:17]
	s_cbranch_execz .LBB18_19
; %bb.18:                               ;   in Loop: Header=BB18_7 Depth=1
	v_mov_b32_e32 v18, v20
	s_waitcnt lgkmcnt(0)
	v_mov_b32_e32 v17, v19
.LBB18_19:                              ;   in Loop: Header=BB18_7 Depth=1
	s_or_b64 exec, exec, s[0:1]
	ds_bpermute_b32 v20, v10, v18
	s_waitcnt lgkmcnt(1)
	;; [unrolled: 26-line block ×3, first 2 shown]
	ds_bpermute_b32 v19, v11, v17
	s_waitcnt lgkmcnt(1)
	v_cmp_lt_f32_e64 s[16:17], v18, v20
	v_cmp_nlt_f32_e64 s[0:1], v18, v20
	s_and_saveexec_b64 s[18:19], s[0:1]
	s_cbranch_execz .LBB18_25
; %bb.24:                               ;   in Loop: Header=BB18_7 Depth=1
	v_cmp_eq_f32_e64 s[0:1], v18, v20
	s_waitcnt lgkmcnt(0)
	v_cmp_lt_i32_e64 s[2:3], v19, v17
	s_and_b64 s[0:1], s[0:1], s[2:3]
	s_andn2_b64 s[2:3], s[16:17], exec
	s_and_b64 s[0:1], s[0:1], exec
	s_or_b64 s[16:17], s[2:3], s[0:1]
.LBB18_25:                              ;   in Loop: Header=BB18_7 Depth=1
	s_or_b64 exec, exec, s[18:19]
	s_and_saveexec_b64 s[0:1], s[16:17]
	s_cbranch_execz .LBB18_27
; %bb.26:                               ;   in Loop: Header=BB18_7 Depth=1
	v_mov_b32_e32 v18, v20
	s_waitcnt lgkmcnt(0)
	v_mov_b32_e32 v17, v19
.LBB18_27:                              ;   in Loop: Header=BB18_7 Depth=1
	s_or_b64 exec, exec, s[0:1]
	s_waitcnt lgkmcnt(0)
	ds_bpermute_b32 v19, v12, v18
	ds_bpermute_b32 v20, v12, v17
	s_waitcnt lgkmcnt(1)
	v_cmp_lt_f32_e64 s[16:17], v18, v19
	v_cmp_nlt_f32_e64 s[0:1], v18, v19
	s_and_saveexec_b64 s[18:19], s[0:1]
	s_cbranch_execnz .LBB18_33
; %bb.28:                               ;   in Loop: Header=BB18_7 Depth=1
	s_or_b64 exec, exec, s[18:19]
	s_and_saveexec_b64 s[0:1], s[16:17]
	s_cbranch_execnz .LBB18_34
.LBB18_29:                              ;   in Loop: Header=BB18_7 Depth=1
	s_or_b64 exec, exec, s[0:1]
	s_and_saveexec_b64 s[16:17], vcc
	s_cbranch_execz .LBB18_31
.LBB18_30:                              ;   in Loop: Header=BB18_7 Depth=1
	s_waitcnt lgkmcnt(0)
	v_add_u32_e32 v20, s11, v3
	v_ashrrev_i32_e32 v21, 31, v20
	v_cmp_le_i32_e64 s[0:1], s9, v17
	v_cmp_gt_i32_e64 s[2:3], s10, v17
	v_lshlrev_b64 v[20:21], 2, v[20:21]
	s_and_b64 s[2:3], s[0:1], s[2:3]
	v_mov_b32_e32 v19, s13
	v_add_co_u32_e64 v22, s[0:1], s12, v20
	v_addc_co_u32_e64 v23, s[0:1], v19, v21, s[0:1]
	global_store_dword v[22:23], v18, off
	v_subrev_u32_e32 v18, s9, v17
	s_and_b64 s[0:1], s[14:15], s[2:3]
	v_cndmask_b32_e64 v22, v16, v18, s[0:1]
	v_mov_b32_e32 v19, s5
	v_add_co_u32_e64 v18, s[0:1], s4, v20
	v_addc_co_u32_e64 v19, s[0:1], v19, v21, s[0:1]
	global_store_dword v[18:19], v22, off
	v_mov_b32_e32 v19, s7
	v_add_co_u32_e64 v18, s[0:1], s6, v20
	v_addc_co_u32_e64 v19, s[0:1], v19, v21, s[0:1]
	global_store_dword v[18:19], v1, off
.LBB18_31:                              ;   in Loop: Header=BB18_7 Depth=1
	s_or_b64 exec, exec, s[16:17]
	v_ashrrev_i32_e32 v18, 31, v17
	v_lshrrev_b32_e32 v19, 30, v18
	s_waitcnt lgkmcnt(0)
	v_add_u32_e32 v20, v17, v19
	v_ashrrev_i32_e32 v19, 2, v20
	v_ashrrev_i32_e32 v20, 31, v20
	v_lshrrev_b32_e32 v20, 26, v20
	v_add_u32_e32 v20, v19, v20
	s_add_i32 s11, s11, 1
	v_and_b32_e32 v20, 0xffffffc0, v20
	s_cmp_lt_i32 s11, s8
	v_sub_u32_e32 v20, v19, v20
	s_cselect_b64 s[2:3], -1, 0
	v_cmp_eq_u32_e64 s[0:1], v6, v20
	s_and_b64 s[2:3], s[2:3], s[0:1]
	s_and_saveexec_b64 s[0:1], s[2:3]
	s_cbranch_execz .LBB18_6
; %bb.32:                               ;   in Loop: Header=BB18_7 Depth=1
	v_add_u32_sdwa v18, v17, v18 dst_sel:DWORD dst_unused:UNUSED_PAD src0_sel:DWORD src1_sel:BYTE_3
	v_lshlrev_b32_e32 v19, 2, v19
	v_ashrrev_i32_e32 v18, 8, v18
	v_sub_u32_e32 v17, v17, v19
	v_lshl_add_u32 v17, v18, 2, v17
	v_lshl_add_u32 v17, v17, 2, v0
	ds_write_b32 v17, v4
	s_branch .LBB18_6
.LBB18_33:                              ;   in Loop: Header=BB18_7 Depth=1
	v_cmp_eq_f32_e64 s[0:1], v18, v19
	s_waitcnt lgkmcnt(0)
	v_cmp_lt_i32_e64 s[2:3], v20, v17
	s_and_b64 s[0:1], s[0:1], s[2:3]
	s_andn2_b64 s[2:3], s[16:17], exec
	s_and_b64 s[0:1], s[0:1], exec
	s_or_b64 s[16:17], s[2:3], s[0:1]
	s_or_b64 exec, exec, s[18:19]
	s_and_saveexec_b64 s[0:1], s[16:17]
	s_cbranch_execz .LBB18_29
.LBB18_34:                              ;   in Loop: Header=BB18_7 Depth=1
	v_mov_b32_e32 v18, v19
	s_waitcnt lgkmcnt(0)
	v_mov_b32_e32 v17, v20
	s_or_b64 exec, exec, s[0:1]
	s_and_saveexec_b64 s[16:17], vcc
	s_cbranch_execnz .LBB18_30
	s_branch .LBB18_31
.LBB18_35:
	s_endpgm
	.section	.rodata,"a",@progbits
	.p2align	6, 0x0
	.amdhsa_kernel _ZN4vllm3moe17topkGatingSoftmaxILi8ELi512ELi4ELi16ELi64EiEEvPKfPKbPfiPT4_Piiii
		.amdhsa_group_segment_fixed_size 8192
		.amdhsa_private_segment_fixed_size 0
		.amdhsa_kernarg_size 60
		.amdhsa_user_sgpr_count 8
		.amdhsa_user_sgpr_private_segment_buffer 1
		.amdhsa_user_sgpr_dispatch_ptr 1
		.amdhsa_user_sgpr_queue_ptr 0
		.amdhsa_user_sgpr_kernarg_segment_ptr 1
		.amdhsa_user_sgpr_dispatch_id 0
		.amdhsa_user_sgpr_flat_scratch_init 0
		.amdhsa_user_sgpr_kernarg_preload_length 0
		.amdhsa_user_sgpr_kernarg_preload_offset 0
		.amdhsa_user_sgpr_private_segment_size 0
		.amdhsa_uses_dynamic_stack 0
		.amdhsa_system_sgpr_private_segment_wavefront_offset 0
		.amdhsa_system_sgpr_workgroup_id_x 1
		.amdhsa_system_sgpr_workgroup_id_y 0
		.amdhsa_system_sgpr_workgroup_id_z 0
		.amdhsa_system_sgpr_workgroup_info 0
		.amdhsa_system_vgpr_workitem_id 2
		.amdhsa_next_free_vgpr 39
		.amdhsa_next_free_sgpr 21
		.amdhsa_accum_offset 40
		.amdhsa_reserve_vcc 1
		.amdhsa_reserve_flat_scratch 0
		.amdhsa_float_round_mode_32 0
		.amdhsa_float_round_mode_16_64 0
		.amdhsa_float_denorm_mode_32 3
		.amdhsa_float_denorm_mode_16_64 3
		.amdhsa_dx10_clamp 1
		.amdhsa_ieee_mode 1
		.amdhsa_fp16_overflow 0
		.amdhsa_tg_split 0
		.amdhsa_exception_fp_ieee_invalid_op 0
		.amdhsa_exception_fp_denorm_src 0
		.amdhsa_exception_fp_ieee_div_zero 0
		.amdhsa_exception_fp_ieee_overflow 0
		.amdhsa_exception_fp_ieee_underflow 0
		.amdhsa_exception_fp_ieee_inexact 0
		.amdhsa_exception_int_div_zero 0
	.end_amdhsa_kernel
	.section	.text._ZN4vllm3moe17topkGatingSoftmaxILi8ELi512ELi4ELi16ELi64EiEEvPKfPKbPfiPT4_Piiii,"axG",@progbits,_ZN4vllm3moe17topkGatingSoftmaxILi8ELi512ELi4ELi16ELi64EiEEvPKfPKbPfiPT4_Piiii,comdat
.Lfunc_end18:
	.size	_ZN4vllm3moe17topkGatingSoftmaxILi8ELi512ELi4ELi16ELi64EiEEvPKfPKbPfiPT4_Piiii, .Lfunc_end18-_ZN4vllm3moe17topkGatingSoftmaxILi8ELi512ELi4ELi16ELi64EiEEvPKfPKbPfiPT4_Piiii
                                        ; -- End function
	.section	.AMDGPU.csdata,"",@progbits
; Kernel info:
; codeLenInByte = 2652
; NumSgprs: 25
; NumVgprs: 39
; NumAgprs: 0
; TotalNumVgprs: 39
; ScratchSize: 0
; MemoryBound: 0
; FloatMode: 240
; IeeeMode: 1
; LDSByteSize: 8192 bytes/workgroup (compile time only)
; SGPRBlocks: 3
; VGPRBlocks: 4
; NumSGPRsForWavesPerEU: 25
; NumVGPRsForWavesPerEU: 39
; AccumOffset: 40
; Occupancy: 8
; WaveLimiterHint : 0
; COMPUTE_PGM_RSRC2:SCRATCH_EN: 0
; COMPUTE_PGM_RSRC2:USER_SGPR: 8
; COMPUTE_PGM_RSRC2:TRAP_HANDLER: 0
; COMPUTE_PGM_RSRC2:TGID_X_EN: 1
; COMPUTE_PGM_RSRC2:TGID_Y_EN: 0
; COMPUTE_PGM_RSRC2:TGID_Z_EN: 0
; COMPUTE_PGM_RSRC2:TIDIG_COMP_CNT: 2
; COMPUTE_PGM_RSRC3_GFX90A:ACCUM_OFFSET: 9
; COMPUTE_PGM_RSRC3_GFX90A:TG_SPLIT: 0
	.section	.text._ZN4vllm3moe17topkGatingSoftmaxILi16ELi512ELi4ELi16ELi32EiEEvPKfPKbPfiPT4_Piiii,"axG",@progbits,_ZN4vllm3moe17topkGatingSoftmaxILi16ELi512ELi4ELi16ELi32EiEEvPKfPKbPfiPT4_Piiii,comdat
	.protected	_ZN4vllm3moe17topkGatingSoftmaxILi16ELi512ELi4ELi16ELi32EiEEvPKfPKbPfiPT4_Piiii ; -- Begin function _ZN4vllm3moe17topkGatingSoftmaxILi16ELi512ELi4ELi16ELi32EiEEvPKfPKbPfiPT4_Piiii
	.globl	_ZN4vllm3moe17topkGatingSoftmaxILi16ELi512ELi4ELi16ELi32EiEEvPKfPKbPfiPT4_Piiii
	.p2align	8
	.type	_ZN4vllm3moe17topkGatingSoftmaxILi16ELi512ELi4ELi16ELi32EiEEvPKfPKbPfiPT4_Piiii,@function
_ZN4vllm3moe17topkGatingSoftmaxILi16ELi512ELi4ELi16ELi32EiEEvPKfPKbPfiPT4_Piiii: ; @_ZN4vllm3moe17topkGatingSoftmaxILi16ELi512ELi4ELi16ELi32EiEEvPKfPKbPfiPT4_Piiii
; %bb.0:
	s_load_dword s24, s[4:5], 0x18
	s_add_u32 s0, s0, s9
	v_and_b32_e32 v1, 0x3ff, v0
	s_addc_u32 s1, s1, 0
	s_lshl_b32 s6, s8, 2
	v_lshrrev_b32_e32 v2, 5, v1
	v_bfe_u32 v0, v0, 10, 10
	v_add3_u32 v17, s6, v0, v2
	s_waitcnt lgkmcnt(0)
	v_cmp_gt_i32_e32 vcc, s24, v17
	s_and_saveexec_b64 s[6:7], vcc
	s_cbranch_execz .LBB19_31
; %bb.1:
	s_load_dwordx4 s[8:11], s[4:5], 0x0
	s_load_dwordx2 s[16:17], s[4:5], 0x10
	s_waitcnt lgkmcnt(0)
	s_cmp_eq_u64 s[10:11], 0
	s_cbranch_scc1 .LBB19_3
; %bb.2:
	v_ashrrev_i32_e32 v0, 31, v17
	v_mov_b32_e32 v3, s11
	v_add_co_u32_e32 v2, vcc, s10, v17
	v_addc_co_u32_e32 v3, vcc, v3, v0, vcc
	global_load_ubyte v0, v[2:3], off
	s_waitcnt vmcnt(0)
	v_and_b32_e32 v0, 1, v0
	v_cmp_eq_u32_e32 vcc, 1, v0
	s_xor_b64 s[6:7], vcc, -1
	s_orn2_b64 s[18:19], s[6:7], exec
	s_branch .LBB19_4
.LBB19_3:
	s_mov_b64 s[18:19], -1
.LBB19_4:
	v_lshlrev_b32_e32 v2, 9, v17
	v_ashrrev_i32_e32 v3, 31, v2
	v_lshlrev_b64 v[2:3], 2, v[2:3]
	v_mov_b32_e32 v0, s9
	v_add_co_u32_e32 v2, vcc, s8, v2
	v_and_b32_e32 v24, 31, v1
	v_addc_co_u32_e32 v0, vcc, v0, v3, vcc
	v_lshlrev_b32_e32 v1, 4, v24
	v_add_co_u32_e32 v18, vcc, v2, v1
	v_addc_co_u32_e32 v19, vcc, 0, v0, vcc
	global_load_dwordx4 v[0:3], v[18:19], off
	global_load_dwordx4 v[4:7], v[18:19], off offset:512
	global_load_dwordx4 v[8:11], v[18:19], off offset:1024
	;; [unrolled: 1-line block ×3, first 2 shown]
	v_mbcnt_lo_u32_b32 v16, -1, 0
	v_mbcnt_hi_u32_b32 v16, -1, v16
	v_and_b32_e32 v18, 0x60, v16
	v_xor_b32_e32 v19, 16, v16
	v_add_u32_e32 v18, 32, v18
	v_cmp_lt_i32_e32 vcc, v19, v18
	v_cndmask_b32_e32 v19, v16, v19, vcc
	v_lshlrev_b32_e32 v25, 2, v19
	v_xor_b32_e32 v21, 8, v16
	v_cmp_lt_i32_e32 vcc, v21, v18
	v_cndmask_b32_e32 v21, v16, v21, vcc
	v_lshlrev_b32_e32 v26, 2, v21
	v_xor_b32_e32 v21, 4, v16
	v_cmp_lt_i32_e32 vcc, v21, v18
	v_cndmask_b32_e32 v21, v16, v21, vcc
	v_lshlrev_b32_e32 v27, 2, v21
	v_xor_b32_e32 v21, 2, v16
	v_cmp_lt_i32_e32 vcc, v21, v18
	v_cndmask_b32_e32 v21, v16, v21, vcc
	v_lshlrev_b32_e32 v28, 2, v21
	v_xor_b32_e32 v21, 1, v16
	v_cmp_lt_i32_e32 vcc, v21, v18
	v_cndmask_b32_e32 v16, v16, v21, vcc
	v_lshlrev_b32_e32 v29, 2, v16
	s_mov_b32 s7, 0x3fb8aa3b
	s_mov_b32 s6, 0xc2ce8ed0
	;; [unrolled: 1-line block ×3, first 2 shown]
	v_mov_b32_e32 v40, 0x7f800000
	s_waitcnt vmcnt(3)
	buffer_store_dword v3, off, s[0:3], 0 offset:12
	buffer_store_dword v2, off, s[0:3], 0 offset:8
	v_max_f32_e32 v19, v1, v1
	v_max_f32_e32 v20, v0, v0
	;; [unrolled: 1-line block ×3, first 2 shown]
	v_max3_f32 v19, v19, v2, v3
	s_waitcnt vmcnt(4)
	v_max3_f32 v19, v19, v4, v5
	v_max3_f32 v19, v19, v6, v7
	s_waitcnt vmcnt(3)
	v_max3_f32 v19, v19, v8, v9
	;; [unrolled: 3-line block ×3, first 2 shown]
	v_max3_f32 v19, v19, v14, v15
	ds_bpermute_b32 v20, v25, v19
	buffer_store_dword v1, off, s[0:3], 0 offset:4
	buffer_store_dword v0, off, s[0:3], 0
	buffer_store_dword v7, off, s[0:3], 0 offset:28
	buffer_store_dword v6, off, s[0:3], 0 offset:24
	;; [unrolled: 1-line block ×12, first 2 shown]
	s_waitcnt lgkmcnt(0)
	v_max_f32_e32 v20, v20, v20
	v_max_f32_e32 v19, v19, v20
	ds_bpermute_b32 v20, v26, v19
	s_waitcnt lgkmcnt(0)
	v_max_f32_e32 v20, v20, v20
	v_max_f32_e32 v19, v19, v20
	ds_bpermute_b32 v20, v27, v19
	s_waitcnt lgkmcnt(0)
	v_max_f32_e32 v20, v20, v20
	v_max_f32_e32 v19, v19, v20
	ds_bpermute_b32 v20, v28, v19
	s_waitcnt lgkmcnt(0)
	v_max_f32_e32 v16, v20, v20
	v_max_f32_e32 v16, v19, v16
	ds_bpermute_b32 v18, v29, v16
	s_waitcnt lgkmcnt(0)
	v_max_f32_e32 v18, v18, v18
	v_max_f32_e32 v16, v16, v18
	v_pk_add_f32 v[18:19], v[2:3], v[16:17] op_sel_hi:[1,0] neg_lo:[0,1] neg_hi:[0,1]
	v_mul_f32_e32 v30, 0x3fb8aa3b, v19
	v_pk_add_f32 v[20:21], v[4:5], v[16:17] op_sel_hi:[1,0] neg_lo:[0,1] neg_hi:[0,1]
	v_mul_f32_e32 v31, 0x3fb8aa3b, v18
	v_fma_f32 v36, v19, s7, -v30
	v_rndne_f32_e32 v37, v30
	v_mul_f32_e32 v32, 0x3fb8aa3b, v21
	v_fma_f32 v38, v18, s7, -v31
	v_rndne_f32_e32 v39, v31
	v_fmac_f32_e32 v36, 0x32a5705f, v19
	v_sub_f32_e32 v30, v30, v37
	v_mul_f32_e32 v33, 0x3fb8aa3b, v20
	v_fma_f32 v41, v21, s7, -v32
	v_rndne_f32_e32 v42, v32
	v_fmac_f32_e32 v38, 0x32a5705f, v18
	v_sub_f32_e32 v31, v31, v39
	v_add_f32_e32 v30, v30, v36
	v_fma_f32 v43, v20, s7, -v33
	v_rndne_f32_e32 v44, v33
	v_cvt_i32_f32_e32 v37, v37
	v_fmac_f32_e32 v41, 0x32a5705f, v21
	v_sub_f32_e32 v32, v32, v42
	v_add_f32_e32 v31, v31, v38
	v_exp_f32_e32 v30, v30
	v_cvt_i32_f32_e32 v39, v39
	v_fmac_f32_e32 v43, 0x32a5705f, v20
	v_sub_f32_e32 v33, v33, v44
	v_add_f32_e32 v32, v32, v41
	v_exp_f32_e32 v31, v31
	v_cvt_i32_f32_e32 v42, v42
	v_add_f32_e32 v33, v33, v43
	v_exp_f32_e32 v32, v32
	v_pk_add_f32 v[22:23], v[6:7], v[16:17] op_sel_hi:[1,0] neg_lo:[0,1] neg_hi:[0,1]
	v_cvt_i32_f32_e32 v44, v44
	v_exp_f32_e32 v33, v33
	v_mul_f32_e32 v34, 0x3fb8aa3b, v23
	v_ldexp_f32 v30, v30, v37
	v_cmp_ngt_f32_e32 vcc, s6, v19
	v_fma_f32 v45, v23, s7, -v34
	v_rndne_f32_e32 v46, v34
	v_ldexp_f32 v31, v31, v39
	v_cndmask_b32_e32 v30, 0, v30, vcc
	v_cmp_ngt_f32_e32 vcc, s6, v18
	v_mul_f32_e32 v35, 0x3fb8aa3b, v22
	v_fmac_f32_e32 v45, 0x32a5705f, v23
	v_sub_f32_e32 v34, v34, v46
	v_ldexp_f32 v32, v32, v42
	v_cndmask_b32_e32 v31, 0, v31, vcc
	v_cmp_ngt_f32_e32 vcc, s6, v21
	v_fma_f32 v47, v22, s7, -v35
	v_rndne_f32_e32 v48, v35
	v_add_f32_e32 v34, v34, v45
	v_ldexp_f32 v33, v33, v44
	v_cndmask_b32_e32 v32, 0, v32, vcc
	v_cmp_ngt_f32_e32 vcc, s6, v20
	v_cvt_i32_f32_e32 v46, v46
	v_fmac_f32_e32 v47, 0x32a5705f, v22
	v_sub_f32_e32 v35, v35, v48
	v_exp_f32_e32 v34, v34
	v_cndmask_b32_e32 v33, 0, v33, vcc
	v_cmp_nlt_f32_e32 vcc, s8, v19
	v_add_f32_e32 v35, v35, v47
	v_cndmask_b32_e32 v19, v40, v30, vcc
	v_cmp_nlt_f32_e32 vcc, s8, v18
	v_cndmask_b32_e32 v18, v40, v31, vcc
	v_cmp_nlt_f32_e32 vcc, s8, v21
	v_exp_f32_e32 v30, v35
	v_cvt_i32_f32_e32 v31, v48
	v_cndmask_b32_e32 v21, v40, v32, vcc
	v_cmp_nlt_f32_e32 vcc, s8, v20
	v_ldexp_f32 v34, v34, v46
	v_cndmask_b32_e32 v20, v40, v33, vcc
	v_cmp_ngt_f32_e32 vcc, s6, v23
	v_cndmask_b32_e32 v32, 0, v34, vcc
	v_cmp_nlt_f32_e32 vcc, s8, v23
	v_cndmask_b32_e32 v23, v40, v32, vcc
	v_ldexp_f32 v32, v30, v31
	v_pk_add_f32 v[30:31], v[8:9], v[16:17] op_sel_hi:[1,0] neg_lo:[0,1] neg_hi:[0,1]
	v_mul_f32_e32 v33, 0x3fb8aa3b, v31
	v_fma_f32 v34, v31, s7, -v33
	v_rndne_f32_e32 v35, v33
	v_fmac_f32_e32 v34, 0x32a5705f, v31
	v_sub_f32_e32 v33, v33, v35
	v_add_f32_e32 v33, v33, v34
	v_exp_f32_e32 v33, v33
	v_cvt_i32_f32_e32 v34, v35
	v_cmp_ngt_f32_e32 vcc, s6, v22
	v_cndmask_b32_e32 v32, 0, v32, vcc
	v_cmp_nlt_f32_e32 vcc, s8, v22
	v_cndmask_b32_e32 v22, v40, v32, vcc
	v_ldexp_f32 v32, v33, v34
	v_mul_f32_e32 v33, 0x3fb8aa3b, v30
	v_fma_f32 v34, v30, s7, -v33
	v_rndne_f32_e32 v35, v33
	v_fmac_f32_e32 v34, 0x32a5705f, v30
	v_sub_f32_e32 v33, v33, v35
	v_add_f32_e32 v33, v33, v34
	v_exp_f32_e32 v33, v33
	v_cvt_i32_f32_e32 v34, v35
	v_cmp_ngt_f32_e32 vcc, s6, v31
	v_cndmask_b32_e32 v32, 0, v32, vcc
	v_cmp_nlt_f32_e32 vcc, s8, v31
	v_cndmask_b32_e32 v31, v40, v32, vcc
	v_ldexp_f32 v34, v33, v34
	v_pk_add_f32 v[32:33], v[10:11], v[16:17] op_sel_hi:[1,0] neg_lo:[0,1] neg_hi:[0,1]
	v_mul_f32_e32 v35, 0x3fb8aa3b, v33
	v_fma_f32 v36, v33, s7, -v35
	v_rndne_f32_e32 v37, v35
	v_fmac_f32_e32 v36, 0x32a5705f, v33
	v_sub_f32_e32 v35, v35, v37
	v_add_f32_e32 v35, v35, v36
	v_exp_f32_e32 v35, v35
	v_cvt_i32_f32_e32 v36, v37
	v_cmp_ngt_f32_e32 vcc, s6, v30
	v_cndmask_b32_e32 v34, 0, v34, vcc
	v_cmp_nlt_f32_e32 vcc, s8, v30
	v_cndmask_b32_e32 v30, v40, v34, vcc
	v_ldexp_f32 v34, v35, v36
	v_mul_f32_e32 v35, 0x3fb8aa3b, v32
	v_fma_f32 v36, v32, s7, -v35
	v_rndne_f32_e32 v37, v35
	v_fmac_f32_e32 v36, 0x32a5705f, v32
	v_sub_f32_e32 v35, v35, v37
	v_add_f32_e32 v35, v35, v36
	v_exp_f32_e32 v35, v35
	v_cvt_i32_f32_e32 v36, v37
	;; [unrolled: 27-line block ×4, first 2 shown]
	v_cmp_ngt_f32_e32 vcc, s6, v37
	v_cndmask_b32_e32 v38, 0, v38, vcc
	v_cmp_nlt_f32_e32 vcc, s8, v37
	v_cndmask_b32_e32 v37, v40, v38, vcc
	v_ldexp_f32 v41, v39, v41
	v_pk_add_f32 v[38:39], v[14:15], v[16:17] op_sel_hi:[1,0] neg_lo:[0,1] neg_hi:[0,1]
	v_mul_f32_e32 v16, 0x3fb8aa3b, v39
	v_fma_f32 v42, v39, s7, -v16
	v_rndne_f32_e32 v43, v16
	v_fmac_f32_e32 v42, 0x32a5705f, v39
	v_sub_f32_e32 v16, v16, v43
	v_add_f32_e32 v16, v16, v42
	v_exp_f32_e32 v16, v16
	v_cvt_i32_f32_e32 v42, v43
	v_cmp_ngt_f32_e32 vcc, s6, v36
	v_cndmask_b32_e32 v41, 0, v41, vcc
	v_cmp_nlt_f32_e32 vcc, s8, v36
	v_cndmask_b32_e32 v36, v40, v41, vcc
	v_mul_f32_e32 v41, 0x3fb8aa3b, v38
	v_ldexp_f32 v16, v16, v42
	v_fma_f32 v42, v38, s7, -v41
	v_rndne_f32_e32 v43, v41
	v_fmac_f32_e32 v42, 0x32a5705f, v38
	v_sub_f32_e32 v41, v41, v43
	v_add_f32_e32 v41, v41, v42
	v_exp_f32_e32 v41, v41
	v_cvt_i32_f32_e32 v42, v43
	v_cmp_ngt_f32_e32 vcc, s6, v39
	v_cndmask_b32_e32 v16, 0, v16, vcc
	v_cmp_nlt_f32_e32 vcc, s8, v39
	v_cndmask_b32_e32 v39, v40, v16, vcc
	v_ldexp_f32 v16, v41, v42
	v_cmp_ngt_f32_e32 vcc, s6, v38
	v_cndmask_b32_e32 v16, 0, v16, vcc
	v_cmp_nlt_f32_e32 vcc, s8, v38
	v_cndmask_b32_e32 v38, v40, v16, vcc
	v_add_f32_e32 v16, v34, v35
	v_add_f32_e32 v16, v16, v18
	;; [unrolled: 1-line block ×15, first 2 shown]
	ds_bpermute_b32 v40, v25, v16
	s_load_dwordx4 s[8:11], s[4:5], 0x30
	s_waitcnt lgkmcnt(0)
	s_mov_b32 s11, 0
	v_add_f32_e32 v16, v16, v40
	ds_bpermute_b32 v40, v26, v16
	s_cmp_lt_i32 s8, 1
	s_waitcnt lgkmcnt(0)
	v_add_f32_e32 v2, v16, v40
	ds_bpermute_b32 v3, v27, v2
	s_waitcnt lgkmcnt(0)
	v_add_f32_e32 v0, v2, v3
	ds_bpermute_b32 v1, v28, v0
	;; [unrolled: 3-line block ×3, first 2 shown]
	s_waitcnt lgkmcnt(0)
	v_add_f32_e32 v0, v0, v1
	v_div_scale_f32 v1, s[6:7], v0, v0, 1.0
	v_rcp_f32_e32 v2, v1
	v_fma_f32 v3, -v1, v2, 1.0
	v_fmac_f32_e32 v2, v3, v2
	v_div_scale_f32 v3, vcc, 1.0, v0, 1.0
	v_mul_f32_e32 v4, v3, v2
	v_fma_f32 v5, -v1, v4, v3
	v_fmac_f32_e32 v4, v5, v2
	v_fma_f32 v1, -v1, v4, v3
	v_div_fmas_f32 v1, v1, v2, v4
	v_div_fixup_f32 v0, v1, v0, 1.0
	v_pk_mul_f32 v[2:3], v[0:1], v[34:35] op_sel_hi:[0,1]
	buffer_store_dword v3, off, s[0:3], 0 offset:4
	buffer_store_dword v2, off, s[0:3], 0
	v_pk_mul_f32 v[2:3], v[0:1], v[18:19] op_sel_hi:[0,1]
	buffer_store_dword v3, off, s[0:3], 0 offset:12
	buffer_store_dword v2, off, s[0:3], 0 offset:8
	v_pk_mul_f32 v[2:3], v[0:1], v[20:21] op_sel_hi:[0,1]
	buffer_store_dword v3, off, s[0:3], 0 offset:20
	buffer_store_dword v2, off, s[0:3], 0 offset:16
	;; [unrolled: 3-line block ×5, first 2 shown]
	v_pk_mul_f32 v[2:3], v[0:1], v[36:37] op_sel_hi:[0,1]
	v_pk_mul_f32 v[0:1], v[0:1], v[38:39] op_sel_hi:[0,1]
	buffer_store_dword v3, off, s[0:3], 0 offset:52
	buffer_store_dword v2, off, s[0:3], 0 offset:48
	;; [unrolled: 1-line block ×4, first 2 shown]
	s_cbranch_scc1 .LBB19_31
; %bb.5:
	s_load_dwordx4 s[12:15], s[4:5], 0x20
	v_lshlrev_b32_e32 v0, 2, v24
	v_cmp_eq_u32_e32 vcc, 0, v24
	v_mul_lo_u32 v1, v17, s8
	v_mov_b32_e32 v2, 0
	v_mov_b32_e32 v3, 0xc61c4000
	;; [unrolled: 1-line block ×8, first 2 shown]
	v_bfrev_b32_e32 v10, 4.0
	v_bfrev_b32_e32 v11, -4.0
	v_mov_b32_e32 v12, 0x180
	v_mov_b32_e32 v13, 0x181
	v_mov_b32_e32 v14, 0x182
	v_mov_b32_e32 v15, 0x183
	v_mov_b32_e32 v16, 0x200
	s_branch .LBB19_7
.LBB19_6:                               ;   in Loop: Header=BB19_7 Depth=1
	s_or_b64 exec, exec, s[4:5]
	s_cmp_eq_u32 s8, s11
	v_add_u32_e32 v17, s24, v17
	s_cbranch_scc1 .LBB19_31
.LBB19_7:                               ; =>This Inner Loop Header: Depth=1
	buffer_load_dword v18, off, s[0:3], 0
	buffer_load_dword v19, off, s[0:3], 0 offset:4
	buffer_load_dword v20, off, s[0:3], 0 offset:8
	;; [unrolled: 1-line block ×15, first 2 shown]
	s_waitcnt vmcnt(14)
	v_cmp_gt_f32_e64 s[4:5], v19, v18
	v_cndmask_b32_e64 v18, v18, v19, s[4:5]
	v_cndmask_b32_e64 v19, 0, 1, s[4:5]
	s_waitcnt vmcnt(13)
	v_cmp_gt_f32_e64 s[4:5], v20, v18
	v_cndmask_b32_e64 v18, v18, v20, s[4:5]
	v_cndmask_b32_e64 v19, v19, 2, s[4:5]
	;; [unrolled: 4-line block ×15, first 2 shown]
	ds_bpermute_b32 v20, v25, v19
	v_or_b32_e32 v18, v0, v18
	ds_bpermute_b32 v21, v25, v18
	s_waitcnt lgkmcnt(0)
	v_cmp_lt_f32_e64 s[20:21], v19, v20
	v_cmp_nlt_f32_e64 s[4:5], v19, v20
	s_and_saveexec_b64 s[22:23], s[4:5]
; %bb.8:                                ;   in Loop: Header=BB19_7 Depth=1
	v_cmp_eq_f32_e64 s[4:5], v19, v20
	v_cmp_lt_i32_e64 s[6:7], v21, v18
	s_and_b64 s[4:5], s[4:5], s[6:7]
	s_andn2_b64 s[6:7], s[20:21], exec
	s_and_b64 s[4:5], s[4:5], exec
	s_or_b64 s[20:21], s[6:7], s[4:5]
; %bb.9:                                ;   in Loop: Header=BB19_7 Depth=1
	s_or_b64 exec, exec, s[22:23]
	s_and_saveexec_b64 s[4:5], s[20:21]
; %bb.10:                               ;   in Loop: Header=BB19_7 Depth=1
	v_mov_b32_e32 v19, v20
	v_mov_b32_e32 v18, v21
; %bb.11:                               ;   in Loop: Header=BB19_7 Depth=1
	s_or_b64 exec, exec, s[4:5]
	ds_bpermute_b32 v21, v26, v19
	ds_bpermute_b32 v20, v26, v18
	s_waitcnt lgkmcnt(1)
	v_cmp_lt_f32_e64 s[20:21], v19, v21
	v_cmp_nlt_f32_e64 s[4:5], v19, v21
	s_and_saveexec_b64 s[22:23], s[4:5]
	s_cbranch_execz .LBB19_13
; %bb.12:                               ;   in Loop: Header=BB19_7 Depth=1
	v_cmp_eq_f32_e64 s[4:5], v19, v21
	s_waitcnt lgkmcnt(0)
	v_cmp_lt_i32_e64 s[6:7], v20, v18
	s_and_b64 s[4:5], s[4:5], s[6:7]
	s_andn2_b64 s[6:7], s[20:21], exec
	s_and_b64 s[4:5], s[4:5], exec
	s_or_b64 s[20:21], s[6:7], s[4:5]
.LBB19_13:                              ;   in Loop: Header=BB19_7 Depth=1
	s_or_b64 exec, exec, s[22:23]
	s_and_saveexec_b64 s[4:5], s[20:21]
	s_cbranch_execz .LBB19_15
; %bb.14:                               ;   in Loop: Header=BB19_7 Depth=1
	v_mov_b32_e32 v19, v21
	s_waitcnt lgkmcnt(0)
	v_mov_b32_e32 v18, v20
.LBB19_15:                              ;   in Loop: Header=BB19_7 Depth=1
	s_or_b64 exec, exec, s[4:5]
	ds_bpermute_b32 v21, v27, v19
	s_waitcnt lgkmcnt(1)
	ds_bpermute_b32 v20, v27, v18
	s_waitcnt lgkmcnt(1)
	v_cmp_lt_f32_e64 s[20:21], v19, v21
	v_cmp_nlt_f32_e64 s[4:5], v19, v21
	s_and_saveexec_b64 s[22:23], s[4:5]
	s_cbranch_execz .LBB19_17
; %bb.16:                               ;   in Loop: Header=BB19_7 Depth=1
	v_cmp_eq_f32_e64 s[4:5], v19, v21
	s_waitcnt lgkmcnt(0)
	v_cmp_lt_i32_e64 s[6:7], v20, v18
	s_and_b64 s[4:5], s[4:5], s[6:7]
	s_andn2_b64 s[6:7], s[20:21], exec
	s_and_b64 s[4:5], s[4:5], exec
	s_or_b64 s[20:21], s[6:7], s[4:5]
.LBB19_17:                              ;   in Loop: Header=BB19_7 Depth=1
	s_or_b64 exec, exec, s[22:23]
	s_and_saveexec_b64 s[4:5], s[20:21]
	s_cbranch_execz .LBB19_19
; %bb.18:                               ;   in Loop: Header=BB19_7 Depth=1
	v_mov_b32_e32 v19, v21
	s_waitcnt lgkmcnt(0)
	v_mov_b32_e32 v18, v20
.LBB19_19:                              ;   in Loop: Header=BB19_7 Depth=1
	s_or_b64 exec, exec, s[4:5]
	ds_bpermute_b32 v21, v28, v19
	s_waitcnt lgkmcnt(1)
	ds_bpermute_b32 v20, v28, v18
	s_waitcnt lgkmcnt(1)
	v_cmp_lt_f32_e64 s[20:21], v19, v21
	v_cmp_nlt_f32_e64 s[4:5], v19, v21
	s_and_saveexec_b64 s[22:23], s[4:5]
	s_cbranch_execz .LBB19_21
; %bb.20:                               ;   in Loop: Header=BB19_7 Depth=1
	v_cmp_eq_f32_e64 s[4:5], v19, v21
	s_waitcnt lgkmcnt(0)
	v_cmp_lt_i32_e64 s[6:7], v20, v18
	s_and_b64 s[4:5], s[4:5], s[6:7]
	s_andn2_b64 s[6:7], s[20:21], exec
	s_and_b64 s[4:5], s[4:5], exec
	s_or_b64 s[20:21], s[6:7], s[4:5]
.LBB19_21:                              ;   in Loop: Header=BB19_7 Depth=1
	s_or_b64 exec, exec, s[22:23]
	s_and_saveexec_b64 s[4:5], s[20:21]
	s_cbranch_execz .LBB19_23
; %bb.22:                               ;   in Loop: Header=BB19_7 Depth=1
	v_mov_b32_e32 v19, v21
	s_waitcnt lgkmcnt(0)
	v_mov_b32_e32 v18, v20
.LBB19_23:                              ;   in Loop: Header=BB19_7 Depth=1
	s_or_b64 exec, exec, s[4:5]
	s_waitcnt lgkmcnt(0)
	ds_bpermute_b32 v20, v29, v19
	ds_bpermute_b32 v21, v29, v18
	s_waitcnt lgkmcnt(1)
	v_cmp_lt_f32_e64 s[20:21], v19, v20
	v_cmp_nlt_f32_e64 s[4:5], v19, v20
	s_and_saveexec_b64 s[22:23], s[4:5]
	s_cbranch_execnz .LBB19_29
; %bb.24:                               ;   in Loop: Header=BB19_7 Depth=1
	s_or_b64 exec, exec, s[22:23]
	s_and_saveexec_b64 s[4:5], s[20:21]
	s_cbranch_execnz .LBB19_30
.LBB19_25:                              ;   in Loop: Header=BB19_7 Depth=1
	s_or_b64 exec, exec, s[4:5]
	s_and_saveexec_b64 s[20:21], vcc
	s_cbranch_execz .LBB19_27
.LBB19_26:                              ;   in Loop: Header=BB19_7 Depth=1
	v_add_u32_e32 v20, s11, v1
	s_waitcnt lgkmcnt(0)
	v_ashrrev_i32_e32 v21, 31, v20
	v_cmp_le_i32_e64 s[4:5], s9, v18
	v_cmp_gt_i32_e64 s[6:7], s10, v18
	v_lshlrev_b64 v[20:21], 2, v[20:21]
	s_and_b64 s[6:7], s[4:5], s[6:7]
	v_mov_b32_e32 v23, s17
	v_add_co_u32_e64 v22, s[4:5], s16, v20
	v_addc_co_u32_e64 v23, s[4:5], v23, v21, s[4:5]
	global_store_dword v[22:23], v19, off
	v_subrev_u32_e32 v19, s9, v18
	s_and_b64 s[4:5], s[18:19], s[6:7]
	v_cndmask_b32_e64 v19, v16, v19, s[4:5]
	v_mov_b32_e32 v23, s13
	v_add_co_u32_e64 v22, s[4:5], s12, v20
	v_addc_co_u32_e64 v23, s[4:5], v23, v21, s[4:5]
	global_store_dword v[22:23], v19, off
	v_mov_b32_e32 v19, s15
	v_add_co_u32_e64 v20, s[4:5], s14, v20
	v_addc_co_u32_e64 v21, s[4:5], v19, v21, s[4:5]
	global_store_dword v[20:21], v17, off
.LBB19_27:                              ;   in Loop: Header=BB19_7 Depth=1
	s_or_b64 exec, exec, s[20:21]
	v_ashrrev_i32_e32 v20, 31, v18
	v_lshrrev_b32_e32 v19, 30, v20
	s_waitcnt lgkmcnt(0)
	v_add_u32_e32 v21, v18, v19
	v_ashrrev_i32_e32 v19, 2, v21
	v_ashrrev_i32_e32 v21, 31, v21
	v_lshrrev_b32_e32 v21, 27, v21
	v_add_u32_e32 v21, v19, v21
	s_add_i32 s11, s11, 1
	v_and_b32_e32 v21, 0xffffffe0, v21
	s_cmp_lt_i32 s11, s8
	v_sub_u32_e32 v21, v19, v21
	s_cselect_b64 s[6:7], -1, 0
	v_cmp_eq_u32_e64 s[4:5], v24, v21
	s_and_b64 s[6:7], s[6:7], s[4:5]
	s_and_saveexec_b64 s[4:5], s[6:7]
	s_cbranch_execz .LBB19_6
; %bb.28:                               ;   in Loop: Header=BB19_7 Depth=1
	v_lshrrev_b32_e32 v20, 25, v20
	v_add_u32_e32 v20, v18, v20
	v_lshlrev_b32_e32 v19, 2, v19
	v_ashrrev_i32_e32 v20, 7, v20
	v_sub_u32_e32 v18, v18, v19
	v_lshl_add_u32 v18, v20, 2, v18
	v_lshl_add_u32 v18, v18, 2, v2
	buffer_store_dword v3, v18, s[0:3], 0 offen
	s_branch .LBB19_6
.LBB19_29:                              ;   in Loop: Header=BB19_7 Depth=1
	v_cmp_eq_f32_e64 s[4:5], v19, v20
	s_waitcnt lgkmcnt(0)
	v_cmp_lt_i32_e64 s[6:7], v21, v18
	s_and_b64 s[4:5], s[4:5], s[6:7]
	s_andn2_b64 s[6:7], s[20:21], exec
	s_and_b64 s[4:5], s[4:5], exec
	s_or_b64 s[20:21], s[6:7], s[4:5]
	s_or_b64 exec, exec, s[22:23]
	s_and_saveexec_b64 s[4:5], s[20:21]
	s_cbranch_execz .LBB19_25
.LBB19_30:                              ;   in Loop: Header=BB19_7 Depth=1
	v_mov_b32_e32 v19, v20
	s_waitcnt lgkmcnt(0)
	v_mov_b32_e32 v18, v21
	s_or_b64 exec, exec, s[4:5]
	s_and_saveexec_b64 s[20:21], vcc
	s_cbranch_execnz .LBB19_26
	s_branch .LBB19_27
.LBB19_31:
	s_endpgm
	.section	.rodata,"a",@progbits
	.p2align	6, 0x0
	.amdhsa_kernel _ZN4vllm3moe17topkGatingSoftmaxILi16ELi512ELi4ELi16ELi32EiEEvPKfPKbPfiPT4_Piiii
		.amdhsa_group_segment_fixed_size 0
		.amdhsa_private_segment_fixed_size 80
		.amdhsa_kernarg_size 60
		.amdhsa_user_sgpr_count 8
		.amdhsa_user_sgpr_private_segment_buffer 1
		.amdhsa_user_sgpr_dispatch_ptr 0
		.amdhsa_user_sgpr_queue_ptr 0
		.amdhsa_user_sgpr_kernarg_segment_ptr 1
		.amdhsa_user_sgpr_dispatch_id 0
		.amdhsa_user_sgpr_flat_scratch_init 1
		.amdhsa_user_sgpr_kernarg_preload_length 0
		.amdhsa_user_sgpr_kernarg_preload_offset 0
		.amdhsa_user_sgpr_private_segment_size 0
		.amdhsa_uses_dynamic_stack 0
		.amdhsa_system_sgpr_private_segment_wavefront_offset 1
		.amdhsa_system_sgpr_workgroup_id_x 1
		.amdhsa_system_sgpr_workgroup_id_y 0
		.amdhsa_system_sgpr_workgroup_id_z 0
		.amdhsa_system_sgpr_workgroup_info 0
		.amdhsa_system_vgpr_workitem_id 1
		.amdhsa_next_free_vgpr 49
		.amdhsa_next_free_sgpr 25
		.amdhsa_accum_offset 52
		.amdhsa_reserve_vcc 1
		.amdhsa_reserve_flat_scratch 0
		.amdhsa_float_round_mode_32 0
		.amdhsa_float_round_mode_16_64 0
		.amdhsa_float_denorm_mode_32 3
		.amdhsa_float_denorm_mode_16_64 3
		.amdhsa_dx10_clamp 1
		.amdhsa_ieee_mode 1
		.amdhsa_fp16_overflow 0
		.amdhsa_tg_split 0
		.amdhsa_exception_fp_ieee_invalid_op 0
		.amdhsa_exception_fp_denorm_src 0
		.amdhsa_exception_fp_ieee_div_zero 0
		.amdhsa_exception_fp_ieee_overflow 0
		.amdhsa_exception_fp_ieee_underflow 0
		.amdhsa_exception_fp_ieee_inexact 0
		.amdhsa_exception_int_div_zero 0
	.end_amdhsa_kernel
	.section	.text._ZN4vllm3moe17topkGatingSoftmaxILi16ELi512ELi4ELi16ELi32EiEEvPKfPKbPfiPT4_Piiii,"axG",@progbits,_ZN4vllm3moe17topkGatingSoftmaxILi16ELi512ELi4ELi16ELi32EiEEvPKfPKbPfiPT4_Piiii,comdat
.Lfunc_end19:
	.size	_ZN4vllm3moe17topkGatingSoftmaxILi16ELi512ELi4ELi16ELi32EiEEvPKfPKbPfiPT4_Piiii, .Lfunc_end19-_ZN4vllm3moe17topkGatingSoftmaxILi16ELi512ELi4ELi16ELi32EiEEvPKfPKbPfiPT4_Piiii
                                        ; -- End function
	.section	.AMDGPU.csdata,"",@progbits
; Kernel info:
; codeLenInByte = 3796
; NumSgprs: 29
; NumVgprs: 49
; NumAgprs: 0
; TotalNumVgprs: 49
; ScratchSize: 80
; MemoryBound: 0
; FloatMode: 240
; IeeeMode: 1
; LDSByteSize: 0 bytes/workgroup (compile time only)
; SGPRBlocks: 3
; VGPRBlocks: 6
; NumSGPRsForWavesPerEU: 29
; NumVGPRsForWavesPerEU: 49
; AccumOffset: 52
; Occupancy: 8
; WaveLimiterHint : 0
; COMPUTE_PGM_RSRC2:SCRATCH_EN: 1
; COMPUTE_PGM_RSRC2:USER_SGPR: 8
; COMPUTE_PGM_RSRC2:TRAP_HANDLER: 0
; COMPUTE_PGM_RSRC2:TGID_X_EN: 1
; COMPUTE_PGM_RSRC2:TGID_Y_EN: 0
; COMPUTE_PGM_RSRC2:TGID_Z_EN: 0
; COMPUTE_PGM_RSRC2:TIDIG_COMP_CNT: 1
; COMPUTE_PGM_RSRC3_GFX90A:ACCUM_OFFSET: 12
; COMPUTE_PGM_RSRC3_GFX90A:TG_SPLIT: 0
	.section	.text._ZN4vllm3moe10moeSoftmaxILi256EEEvPKfPKbPfi,"axG",@progbits,_ZN4vllm3moe10moeSoftmaxILi256EEEvPKfPKbPfi,comdat
	.protected	_ZN4vllm3moe10moeSoftmaxILi256EEEvPKfPKbPfi ; -- Begin function _ZN4vllm3moe10moeSoftmaxILi256EEEvPKfPKbPfi
	.globl	_ZN4vllm3moe10moeSoftmaxILi256EEEvPKfPKbPfi
	.p2align	8
	.type	_ZN4vllm3moe10moeSoftmaxILi256EEEvPKfPKbPfi,@function
_ZN4vllm3moe10moeSoftmaxILi256EEEvPKfPKbPfi: ; @_ZN4vllm3moe10moeSoftmaxILi256EEEvPKfPKbPfi
; %bb.0:
	s_load_dwordx4 s[8:11], s[4:5], 0x0
	s_waitcnt lgkmcnt(0)
	s_cmp_eq_u64 s[10:11], 0
	s_cselect_b64 s[0:1], -1, 0
	s_and_b64 vcc, exec, s[0:1]
	s_cbranch_vccnz .LBB20_2
; %bb.1:
	v_mov_b32_e32 v1, s6
	global_load_ubyte v1, v1, s[10:11]
	s_waitcnt vmcnt(0)
	v_and_b32_e32 v1, 1, v1
	v_cmp_eq_u32_e32 vcc, 1, v1
	s_xor_b64 s[0:1], vcc, -1
.LBB20_2:
	s_andn2_b64 vcc, exec, s[0:1]
	s_cbranch_vccnz .LBB20_26
; %bb.3:
	s_load_dword s16, s[4:5], 0x18
	s_load_dwordx2 s[10:11], s[4:5], 0x10
	v_mov_b32_e32 v6, 0xff7fffff
	s_waitcnt lgkmcnt(0)
	s_mul_i32 s6, s6, s16
	v_add_u32_e32 v2, s6, v0
	v_cmp_gt_i32_e64 s[0:1], s16, v0
	v_ashrrev_i32_e32 v3, 31, v2
	s_and_saveexec_b64 s[2:3], s[0:1]
	s_cbranch_execz .LBB20_7
; %bb.4:
	v_lshlrev_b64 v[4:5], 2, v[2:3]
	v_mov_b32_e32 v1, s9
	v_add_co_u32_e32 v4, vcc, s8, v4
	v_addc_co_u32_e32 v5, vcc, v1, v5, vcc
	s_mov_b64 s[4:5], 0
	v_mov_b32_e32 v6, 0xff7fffff
	v_mov_b32_e32 v1, v0
.LBB20_5:                               ; =>This Inner Loop Header: Depth=1
	global_load_dword v7, v[4:5], off
	v_add_co_u32_e32 v4, vcc, 0x400, v4
	v_add_u32_e32 v1, 0x100, v1
	v_addc_co_u32_e32 v5, vcc, 0, v5, vcc
	v_max_f32_e32 v6, v6, v6
	v_cmp_le_i32_e32 vcc, s16, v1
	s_or_b64 s[4:5], vcc, s[4:5]
	s_waitcnt vmcnt(0)
	v_max_f32_e32 v7, v7, v7
	v_max_f32_e32 v6, v7, v6
	s_andn2_b64 exec, exec, s[4:5]
	s_cbranch_execnz .LBB20_5
; %bb.6:
	s_or_b64 exec, exec, s[4:5]
.LBB20_7:
	s_or_b64 exec, exec, s[2:3]
	v_mov_b32_dpp v4, v6 quad_perm:[1,0,3,2] row_mask:0xf bank_mask:0xf
	v_cmp_gt_f32_e32 vcc, v6, v4
	v_cndmask_b32_e32 v4, v4, v6, vcc
	v_mbcnt_lo_u32_b32 v1, -1, 0
	v_mbcnt_hi_u32_b32 v1, -1, v1
	v_mov_b32_dpp v5, v4 quad_perm:[2,3,0,1] row_mask:0xf bank_mask:0xf
	v_cmp_gt_f32_e32 vcc, v4, v5
	v_cndmask_b32_e32 v4, v5, v4, vcc
	v_cmp_eq_u32_e64 s[2:3], 0, v1
	v_lshrrev_b32_e32 v7, 4, v0
	v_mov_b32_dpp v5, v4 row_ror:4 row_mask:0xf bank_mask:0xf
	v_cmp_gt_f32_e32 vcc, v4, v5
	v_cndmask_b32_e32 v4, v5, v4, vcc
	s_nop 1
	v_mov_b32_dpp v5, v4 row_ror:8 row_mask:0xf bank_mask:0xf
	v_cmp_gt_f32_e32 vcc, v4, v5
	v_cndmask_b32_e32 v4, v5, v4, vcc
	s_nop 1
	v_mov_b32_dpp v5, v4 row_bcast:15 row_mask:0xf bank_mask:0xf
	v_cmp_gt_f32_e32 vcc, v4, v5
	v_cndmask_b32_e32 v4, v5, v4, vcc
	s_nop 1
	v_mov_b32_dpp v5, v4 row_bcast:31 row_mask:0xf bank_mask:0xf
	v_cmp_gt_f32_e32 vcc, v4, v5
	v_cndmask_b32_e32 v4, v5, v4, vcc
	v_bfrev_b32_e32 v5, 0.5
	v_lshl_or_b32 v8, v1, 2, v5
	ds_bpermute_b32 v4, v8, v4
	s_and_saveexec_b64 s[4:5], s[2:3]
	s_cbranch_execz .LBB20_9
; %bb.8:
	v_and_b32_e32 v5, 12, v7
	s_waitcnt lgkmcnt(0)
	ds_write_b32 v5, v4
.LBB20_9:
	s_or_b64 exec, exec, s[4:5]
	v_cmp_gt_u32_e64 s[4:5], 64, v0
	v_and_b32_e32 v6, 3, v1
	s_waitcnt lgkmcnt(0)
	s_barrier
	s_and_saveexec_b64 s[6:7], s[4:5]
	s_cbranch_execz .LBB20_11
; %bb.10:
	v_lshlrev_b32_e32 v4, 2, v6
	ds_read_b32 v4, v4
	v_cmp_ne_u32_e32 vcc, 3, v6
	v_addc_co_u32_e32 v5, vcc, 0, v1, vcc
	v_lshlrev_b32_e32 v5, 2, v5
	s_waitcnt lgkmcnt(0)
	ds_bpermute_b32 v5, v5, v4
	v_cmp_gt_u32_e32 vcc, 2, v6
	v_cndmask_b32_e64 v9, 0, 1, vcc
	v_lshlrev_b32_e32 v9, 1, v9
	s_waitcnt lgkmcnt(0)
	v_cmp_lt_f32_e32 vcc, v4, v5
	v_cndmask_b32_e32 v4, v4, v5, vcc
	v_add_lshl_u32 v5, v9, v1, 2
	ds_bpermute_b32 v5, v5, v4
	s_waitcnt lgkmcnt(0)
	v_cmp_lt_f32_e32 vcc, v4, v5
	v_cndmask_b32_e32 v4, v4, v5, vcc
.LBB20_11:
	s_or_b64 exec, exec, s[6:7]
	v_cmp_eq_u32_e64 s[6:7], 0, v0
	s_and_saveexec_b64 s[12:13], s[6:7]
	s_cbranch_execz .LBB20_13
; %bb.12:
	v_mov_b32_e32 v5, 0
	ds_write_b32 v5, v4 offset:20
.LBB20_13:
	s_or_b64 exec, exec, s[12:13]
	v_mov_b32_e32 v9, 0
	s_waitcnt lgkmcnt(0)
	s_barrier
	s_and_saveexec_b64 s[12:13], s[0:1]
	s_cbranch_execz .LBB20_17
; %bb.14:
	v_mov_b32_e32 v9, 0
	ds_read_b32 v10, v9 offset:20
	v_lshlrev_b64 v[4:5], 2, v[2:3]
	v_mov_b32_e32 v11, s9
	v_add_co_u32_e32 v4, vcc, s8, v4
	v_addc_co_u32_e32 v5, vcc, v11, v5, vcc
	s_mov_b64 s[14:15], 0
	s_mov_b32 s17, 0x3fb8aa3b
	s_mov_b32 s18, 0xc2ce8ed0
	;; [unrolled: 1-line block ×3, first 2 shown]
	v_mov_b32_e32 v11, 0x7f800000
	v_mov_b32_e32 v12, v0
.LBB20_15:                              ; =>This Inner Loop Header: Depth=1
	global_load_dword v13, v[4:5], off
	v_add_co_u32_e32 v4, vcc, 0x400, v4
	v_add_u32_e32 v12, 0x100, v12
	v_addc_co_u32_e32 v5, vcc, 0, v5, vcc
	v_cmp_le_i32_e32 vcc, s16, v12
	s_or_b64 s[14:15], vcc, s[14:15]
	s_waitcnt vmcnt(0) lgkmcnt(0)
	v_sub_f32_e32 v13, v13, v10
	v_mul_f32_e32 v14, 0x3fb8aa3b, v13
	v_fma_f32 v15, v13, s17, -v14
	v_rndne_f32_e32 v16, v14
	v_fmac_f32_e32 v15, 0x32a5705f, v13
	v_sub_f32_e32 v14, v14, v16
	v_add_f32_e32 v14, v14, v15
	v_cvt_i32_f32_e32 v16, v16
	v_exp_f32_e32 v14, v14
	v_cmp_ngt_f32_e32 vcc, s18, v13
	v_ldexp_f32 v14, v14, v16
	v_cndmask_b32_e32 v14, 0, v14, vcc
	v_cmp_nlt_f32_e32 vcc, s19, v13
	v_cndmask_b32_e32 v13, v11, v14, vcc
	v_add_f32_e32 v9, v9, v13
	s_andn2_b64 exec, exec, s[14:15]
	s_cbranch_execnz .LBB20_15
; %bb.16:
	s_or_b64 exec, exec, s[14:15]
.LBB20_17:
	s_or_b64 exec, exec, s[12:13]
	v_mov_b32_dpp v4, v9 quad_perm:[1,0,3,2] row_mask:0xf bank_mask:0xf
	v_add_f32_e32 v4, v9, v4
	s_nop 1
	v_mov_b32_dpp v5, v4 quad_perm:[2,3,0,1] row_mask:0xf bank_mask:0xf
	v_add_f32_e32 v4, v4, v5
	s_nop 1
	v_mov_b32_dpp v5, v4 row_ror:4 row_mask:0xf bank_mask:0xf
	v_add_f32_e32 v4, v4, v5
	s_nop 1
	v_mov_b32_dpp v5, v4 row_ror:8 row_mask:0xf bank_mask:0xf
	v_add_f32_e32 v4, v4, v5
	s_nop 1
	v_mov_b32_dpp v5, v4 row_bcast:15 row_mask:0xf bank_mask:0xf
	v_add_f32_e32 v4, v4, v5
	s_nop 1
	v_mov_b32_dpp v5, v4 row_bcast:31 row_mask:0xf bank_mask:0xf
	v_add_f32_e32 v4, v4, v5
	ds_bpermute_b32 v4, v8, v4
	s_and_saveexec_b64 s[12:13], s[2:3]
	s_cbranch_execz .LBB20_19
; %bb.18:
	v_and_b32_e32 v5, 12, v7
	s_waitcnt lgkmcnt(0)
	ds_write_b32 v5, v4
.LBB20_19:
	s_or_b64 exec, exec, s[12:13]
	s_waitcnt lgkmcnt(0)
	s_barrier
	s_and_saveexec_b64 s[2:3], s[4:5]
	s_cbranch_execz .LBB20_21
; %bb.20:
	v_lshlrev_b32_e32 v4, 2, v6
	ds_read_b32 v4, v4
	v_cmp_ne_u32_e32 vcc, 3, v6
	v_addc_co_u32_e32 v5, vcc, 0, v1, vcc
	v_lshlrev_b32_e32 v5, 2, v5
	s_waitcnt lgkmcnt(0)
	ds_bpermute_b32 v5, v5, v4
	v_cmp_gt_u32_e32 vcc, 2, v6
	v_cndmask_b32_e64 v6, 0, 1, vcc
	v_lshlrev_b32_e32 v6, 1, v6
	v_add_lshl_u32 v1, v6, v1, 2
	s_waitcnt lgkmcnt(0)
	v_add_f32_e32 v4, v4, v5
	ds_bpermute_b32 v1, v1, v4
	s_waitcnt lgkmcnt(0)
	v_add_f32_e32 v4, v4, v1
.LBB20_21:
	s_or_b64 exec, exec, s[2:3]
	s_and_saveexec_b64 s[2:3], s[6:7]
	s_cbranch_execz .LBB20_23
; %bb.22:
	v_div_scale_f32 v1, s[4:5], v4, v4, 1.0
	v_rcp_f32_e32 v5, v1
	v_div_scale_f32 v6, vcc, 1.0, v4, 1.0
	v_fma_f32 v7, -v1, v5, 1.0
	v_fmac_f32_e32 v5, v7, v5
	v_mul_f32_e32 v7, v6, v5
	v_fma_f32 v8, -v1, v7, v6
	v_fmac_f32_e32 v7, v8, v5
	v_fma_f32 v1, -v1, v7, v6
	v_div_fmas_f32 v1, v1, v5, v7
	v_div_fixup_f32 v1, v1, v4, 1.0
	v_mov_b32_e32 v4, 0
	ds_write_b32 v4, v1 offset:16
.LBB20_23:
	s_or_b64 exec, exec, s[2:3]
	s_waitcnt lgkmcnt(0)
	s_barrier
	s_and_saveexec_b64 s[2:3], s[0:1]
	s_cbranch_execz .LBB20_26
; %bb.24:
	v_mov_b32_e32 v1, 0
	ds_read_b64 v[4:5], v1 offset:16
	v_lshlrev_b64 v[6:7], 2, v[2:3]
	v_mov_b32_e32 v1, s9
	v_add_co_u32_e32 v2, vcc, s8, v6
	v_addc_co_u32_e32 v3, vcc, v1, v7, vcc
	v_mov_b32_e32 v1, s11
	v_add_co_u32_e32 v6, vcc, s10, v6
	v_addc_co_u32_e32 v7, vcc, v1, v7, vcc
	s_mov_b64 s[0:1], 0
	s_mov_b32 s2, 0x3fb8aa3b
	s_mov_b32 s3, 0xc2ce8ed0
	;; [unrolled: 1-line block ×3, first 2 shown]
	v_mov_b32_e32 v1, 0x7f800000
.LBB20_25:                              ; =>This Inner Loop Header: Depth=1
	global_load_dword v8, v[2:3], off
	v_add_co_u32_e32 v2, vcc, 0x400, v2
	v_add_u32_e32 v0, 0x100, v0
	v_addc_co_u32_e32 v3, vcc, 0, v3, vcc
	v_cmp_le_i32_e32 vcc, s16, v0
	s_or_b64 s[0:1], vcc, s[0:1]
	s_waitcnt vmcnt(0) lgkmcnt(0)
	v_sub_f32_e32 v8, v8, v5
	v_mul_f32_e32 v9, 0x3fb8aa3b, v8
	v_fma_f32 v10, v8, s2, -v9
	v_rndne_f32_e32 v11, v9
	v_fmac_f32_e32 v10, 0x32a5705f, v8
	v_sub_f32_e32 v9, v9, v11
	v_add_f32_e32 v9, v9, v10
	v_cvt_i32_f32_e32 v11, v11
	v_exp_f32_e32 v9, v9
	v_cmp_ngt_f32_e32 vcc, s3, v8
	v_ldexp_f32 v9, v9, v11
	v_cndmask_b32_e32 v9, 0, v9, vcc
	v_cmp_nlt_f32_e32 vcc, s4, v8
	v_cndmask_b32_e32 v8, v1, v9, vcc
	v_mul_f32_e32 v8, v4, v8
	global_store_dword v[6:7], v8, off
	v_add_co_u32_e32 v6, vcc, 0x400, v6
	v_addc_co_u32_e32 v7, vcc, 0, v7, vcc
	s_andn2_b64 exec, exec, s[0:1]
	s_cbranch_execnz .LBB20_25
.LBB20_26:
	s_endpgm
	.section	.rodata,"a",@progbits
	.p2align	6, 0x0
	.amdhsa_kernel _ZN4vllm3moe10moeSoftmaxILi256EEEvPKfPKbPfi
		.amdhsa_group_segment_fixed_size 24
		.amdhsa_private_segment_fixed_size 0
		.amdhsa_kernarg_size 28
		.amdhsa_user_sgpr_count 6
		.amdhsa_user_sgpr_private_segment_buffer 1
		.amdhsa_user_sgpr_dispatch_ptr 0
		.amdhsa_user_sgpr_queue_ptr 0
		.amdhsa_user_sgpr_kernarg_segment_ptr 1
		.amdhsa_user_sgpr_dispatch_id 0
		.amdhsa_user_sgpr_flat_scratch_init 0
		.amdhsa_user_sgpr_kernarg_preload_length 0
		.amdhsa_user_sgpr_kernarg_preload_offset 0
		.amdhsa_user_sgpr_private_segment_size 0
		.amdhsa_uses_dynamic_stack 0
		.amdhsa_system_sgpr_private_segment_wavefront_offset 0
		.amdhsa_system_sgpr_workgroup_id_x 1
		.amdhsa_system_sgpr_workgroup_id_y 0
		.amdhsa_system_sgpr_workgroup_id_z 0
		.amdhsa_system_sgpr_workgroup_info 0
		.amdhsa_system_vgpr_workitem_id 0
		.amdhsa_next_free_vgpr 17
		.amdhsa_next_free_sgpr 20
		.amdhsa_accum_offset 20
		.amdhsa_reserve_vcc 1
		.amdhsa_reserve_flat_scratch 0
		.amdhsa_float_round_mode_32 0
		.amdhsa_float_round_mode_16_64 0
		.amdhsa_float_denorm_mode_32 3
		.amdhsa_float_denorm_mode_16_64 3
		.amdhsa_dx10_clamp 1
		.amdhsa_ieee_mode 1
		.amdhsa_fp16_overflow 0
		.amdhsa_tg_split 0
		.amdhsa_exception_fp_ieee_invalid_op 0
		.amdhsa_exception_fp_denorm_src 0
		.amdhsa_exception_fp_ieee_div_zero 0
		.amdhsa_exception_fp_ieee_overflow 0
		.amdhsa_exception_fp_ieee_underflow 0
		.amdhsa_exception_fp_ieee_inexact 0
		.amdhsa_exception_int_div_zero 0
	.end_amdhsa_kernel
	.section	.text._ZN4vllm3moe10moeSoftmaxILi256EEEvPKfPKbPfi,"axG",@progbits,_ZN4vllm3moe10moeSoftmaxILi256EEEvPKfPKbPfi,comdat
.Lfunc_end20:
	.size	_ZN4vllm3moe10moeSoftmaxILi256EEEvPKfPKbPfi, .Lfunc_end20-_ZN4vllm3moe10moeSoftmaxILi256EEEvPKfPKbPfi
                                        ; -- End function
	.section	.AMDGPU.csdata,"",@progbits
; Kernel info:
; codeLenInByte = 1360
; NumSgprs: 24
; NumVgprs: 17
; NumAgprs: 0
; TotalNumVgprs: 17
; ScratchSize: 0
; MemoryBound: 0
; FloatMode: 240
; IeeeMode: 1
; LDSByteSize: 24 bytes/workgroup (compile time only)
; SGPRBlocks: 2
; VGPRBlocks: 2
; NumSGPRsForWavesPerEU: 24
; NumVGPRsForWavesPerEU: 17
; AccumOffset: 20
; Occupancy: 8
; WaveLimiterHint : 0
; COMPUTE_PGM_RSRC2:SCRATCH_EN: 0
; COMPUTE_PGM_RSRC2:USER_SGPR: 6
; COMPUTE_PGM_RSRC2:TRAP_HANDLER: 0
; COMPUTE_PGM_RSRC2:TGID_X_EN: 1
; COMPUTE_PGM_RSRC2:TGID_Y_EN: 0
; COMPUTE_PGM_RSRC2:TGID_Z_EN: 0
; COMPUTE_PGM_RSRC2:TIDIG_COMP_CNT: 0
; COMPUTE_PGM_RSRC3_GFX90A:ACCUM_OFFSET: 4
; COMPUTE_PGM_RSRC3_GFX90A:TG_SPLIT: 0
	.text
	.p2align	2                               ; -- Begin function __ockl_fprintf_append_string_n
	.type	__ockl_fprintf_append_string_n,@function
__ockl_fprintf_append_string_n:         ; @__ockl_fprintf_append_string_n
; %bb.0:
	s_waitcnt vmcnt(0) expcnt(0) lgkmcnt(0)
	v_mov_b32_e32 v9, v3
	v_mov_b32_e32 v8, v2
	v_or_b32_e32 v2, 2, v0
	v_cmp_eq_u32_e32 vcc, 0, v6
	s_mov_b32 s22, 0
	v_cndmask_b32_e32 v0, v2, v0, vcc
	s_mov_b64 s[6:7], 0
	v_cmp_ne_u64_e32 vcc, 0, v[8:9]
	v_mbcnt_lo_u32_b32 v2, -1, 0
	s_and_saveexec_b64 s[4:5], vcc
	s_xor_b64 s[10:11], exec, s[4:5]
	s_cbranch_execz .LBB21_86
; %bb.1:
	s_load_dwordx2 s[12:13], s[8:9], 0x50
	v_and_b32_e32 v6, 2, v0
	v_mov_b32_e32 v31, 0
	v_and_b32_e32 v0, -3, v0
	v_mbcnt_hi_u32_b32 v32, -1, v2
	s_movk_i32 s23, 0xff1f
	v_mov_b32_e32 v12, 2
	v_mov_b32_e32 v13, 1
	s_branch .LBB21_3
.LBB21_2:                               ;   in Loop: Header=BB21_3 Depth=1
	s_or_b64 exec, exec, s[16:17]
	v_sub_co_u32_e32 v4, vcc, v4, v34
	v_subb_co_u32_e32 v5, vcc, v5, v35, vcc
	v_cmp_eq_u64_e32 vcc, 0, v[4:5]
	s_or_b64 s[6:7], vcc, s[6:7]
	v_add_co_u32_e32 v8, vcc, v8, v34
	v_addc_co_u32_e32 v9, vcc, v9, v35, vcc
	s_andn2_b64 exec, exec, s[6:7]
	s_cbranch_execz .LBB21_85
.LBB21_3:                               ; =>This Loop Header: Depth=1
                                        ;     Child Loop BB21_6 Depth 2
                                        ;     Child Loop BB21_14 Depth 2
	;; [unrolled: 1-line block ×11, first 2 shown]
	v_cmp_gt_u64_e32 vcc, 56, v[4:5]
	v_cndmask_b32_e32 v35, 0, v5, vcc
	v_cndmask_b32_e32 v34, 56, v4, vcc
	v_cmp_gt_u64_e32 vcc, 8, v[4:5]
                                        ; implicit-def: $vgpr2_vgpr3
                                        ; implicit-def: $sgpr14
	s_and_saveexec_b64 s[4:5], vcc
	s_xor_b64 s[4:5], exec, s[4:5]
	s_cbranch_execz .LBB21_9
; %bb.4:                                ;   in Loop: Header=BB21_3 Depth=1
	s_mov_b64 s[16:17], 0
	v_cmp_ne_u64_e32 vcc, 0, v[4:5]
	s_waitcnt vmcnt(0)
	v_pk_mov_b32 v[2:3], 0, 0
	s_and_saveexec_b64 s[14:15], vcc
	s_cbranch_execz .LBB21_8
; %bb.5:                                ;   in Loop: Header=BB21_3 Depth=1
	v_lshlrev_b64 v[10:11], 3, v[34:35]
	v_pk_mov_b32 v[2:3], 0, 0
	v_pk_mov_b32 v[14:15], v[8:9], v[8:9] op_sel:[0,1]
	s_mov_b64 s[18:19], 0
.LBB21_6:                               ;   Parent Loop BB21_3 Depth=1
                                        ; =>  This Inner Loop Header: Depth=2
	flat_load_ubyte v7, v[14:15]
	v_mov_b32_e32 v17, s22
	v_add_co_u32_e32 v14, vcc, 1, v14
	v_addc_co_u32_e32 v15, vcc, 0, v15, vcc
	s_waitcnt vmcnt(0) lgkmcnt(0)
	v_and_b32_e32 v16, 0xffff, v7
	v_lshlrev_b64 v[16:17], s18, v[16:17]
	s_add_u32 s18, s18, 8
	s_addc_u32 s19, s19, 0
	v_cmp_eq_u32_e32 vcc, s18, v10
	v_or_b32_e32 v3, v17, v3
	s_or_b64 s[16:17], vcc, s[16:17]
	v_or_b32_e32 v2, v16, v2
	s_andn2_b64 exec, exec, s[16:17]
	s_cbranch_execnz .LBB21_6
; %bb.7:                                ;   in Loop: Header=BB21_3 Depth=1
	s_or_b64 exec, exec, s[16:17]
.LBB21_8:                               ;   in Loop: Header=BB21_3 Depth=1
	s_or_b64 exec, exec, s[14:15]
	s_mov_b32 s14, 0
.LBB21_9:                               ;   in Loop: Header=BB21_3 Depth=1
	s_or_saveexec_b64 s[4:5], s[4:5]
	v_mov_b32_e32 v7, s14
	v_pk_mov_b32 v[10:11], v[8:9], v[8:9] op_sel:[0,1]
	s_xor_b64 exec, exec, s[4:5]
	s_cbranch_execz .LBB21_11
; %bb.10:                               ;   in Loop: Header=BB21_3 Depth=1
	s_waitcnt vmcnt(0)
	flat_load_dwordx2 v[2:3], v[8:9]
	v_add_u32_e32 v7, -8, v34
	s_waitcnt vmcnt(0) lgkmcnt(0)
	v_and_b32_e32 v10, 0xff, v3
	v_and_b32_e32 v11, 0xff00, v3
	v_and_b32_e32 v14, 0xff0000, v3
	v_and_b32_e32 v3, 0xff000000, v3
	v_or_b32_e32 v10, v10, v11
	v_or3_b32 v3, v10, v14, v3
	v_add_co_u32_e32 v10, vcc, 8, v8
	v_or3_b32 v2, v2, 0, 0
	v_addc_co_u32_e32 v11, vcc, 0, v9, vcc
.LBB21_11:                              ;   in Loop: Header=BB21_3 Depth=1
	s_or_b64 exec, exec, s[4:5]
	v_cmp_gt_u32_e32 vcc, 8, v7
                                        ; implicit-def: $vgpr14_vgpr15
                                        ; implicit-def: $sgpr14
	s_and_saveexec_b64 s[4:5], vcc
	s_xor_b64 s[4:5], exec, s[4:5]
	s_cbranch_execz .LBB21_17
; %bb.12:                               ;   in Loop: Header=BB21_3 Depth=1
	v_cmp_ne_u32_e32 vcc, 0, v7
	v_pk_mov_b32 v[14:15], 0, 0
	s_and_saveexec_b64 s[14:15], vcc
	s_cbranch_execz .LBB21_16
; %bb.13:                               ;   in Loop: Header=BB21_3 Depth=1
	s_mov_b64 s[16:17], 0
	v_pk_mov_b32 v[14:15], 0, 0
	s_mov_b64 s[18:19], 0
	s_mov_b64 s[20:21], 0
.LBB21_14:                              ;   Parent Loop BB21_3 Depth=1
                                        ; =>  This Inner Loop Header: Depth=2
	v_mov_b32_e32 v17, s21
	v_add_co_u32_e32 v16, vcc, s20, v10
	v_addc_co_u32_e32 v17, vcc, v11, v17, vcc
	flat_load_ubyte v16, v[16:17]
	s_add_u32 s20, s20, 1
	v_mov_b32_e32 v17, s22
	s_addc_u32 s21, s21, 0
	v_cmp_eq_u32_e32 vcc, s20, v7
	s_waitcnt vmcnt(0) lgkmcnt(0)
	v_and_b32_e32 v16, 0xffff, v16
	v_lshlrev_b64 v[16:17], s18, v[16:17]
	s_add_u32 s18, s18, 8
	s_addc_u32 s19, s19, 0
	v_or_b32_e32 v15, v17, v15
	s_or_b64 s[16:17], vcc, s[16:17]
	v_or_b32_e32 v14, v16, v14
	s_andn2_b64 exec, exec, s[16:17]
	s_cbranch_execnz .LBB21_14
; %bb.15:                               ;   in Loop: Header=BB21_3 Depth=1
	s_or_b64 exec, exec, s[16:17]
.LBB21_16:                              ;   in Loop: Header=BB21_3 Depth=1
	s_or_b64 exec, exec, s[14:15]
	s_mov_b32 s14, 0
                                        ; implicit-def: $vgpr7
.LBB21_17:                              ;   in Loop: Header=BB21_3 Depth=1
	s_or_saveexec_b64 s[4:5], s[4:5]
	v_mov_b32_e32 v18, s14
	s_xor_b64 exec, exec, s[4:5]
	s_cbranch_execz .LBB21_19
; %bb.18:                               ;   in Loop: Header=BB21_3 Depth=1
	flat_load_dwordx2 v[14:15], v[10:11]
	v_add_u32_e32 v18, -8, v7
	v_add_co_u32_e32 v10, vcc, 8, v10
	v_addc_co_u32_e32 v11, vcc, 0, v11, vcc
	s_waitcnt vmcnt(0) lgkmcnt(0)
	v_and_b32_e32 v7, 0xff, v15
	v_and_b32_e32 v16, 0xff00, v15
	;; [unrolled: 1-line block ×4, first 2 shown]
	v_or_b32_e32 v7, v7, v16
	v_or3_b32 v14, v14, 0, 0
	v_or3_b32 v15, v7, v17, v15
.LBB21_19:                              ;   in Loop: Header=BB21_3 Depth=1
	s_or_b64 exec, exec, s[4:5]
	v_cmp_gt_u32_e32 vcc, 8, v18
                                        ; implicit-def: $sgpr14
	s_and_saveexec_b64 s[4:5], vcc
	s_xor_b64 s[4:5], exec, s[4:5]
	s_cbranch_execz .LBB21_25
; %bb.20:                               ;   in Loop: Header=BB21_3 Depth=1
	v_cmp_ne_u32_e32 vcc, 0, v18
	v_pk_mov_b32 v[16:17], 0, 0
	s_and_saveexec_b64 s[14:15], vcc
	s_cbranch_execz .LBB21_24
; %bb.21:                               ;   in Loop: Header=BB21_3 Depth=1
	s_mov_b64 s[16:17], 0
	v_pk_mov_b32 v[16:17], 0, 0
	s_mov_b64 s[18:19], 0
	s_mov_b64 s[20:21], 0
.LBB21_22:                              ;   Parent Loop BB21_3 Depth=1
                                        ; =>  This Inner Loop Header: Depth=2
	v_mov_b32_e32 v7, s21
	v_add_co_u32_e32 v20, vcc, s20, v10
	v_addc_co_u32_e32 v21, vcc, v11, v7, vcc
	flat_load_ubyte v7, v[20:21]
	s_add_u32 s20, s20, 1
	v_mov_b32_e32 v21, s22
	s_addc_u32 s21, s21, 0
	v_cmp_eq_u32_e32 vcc, s20, v18
	s_waitcnt vmcnt(0) lgkmcnt(0)
	v_and_b32_e32 v20, 0xffff, v7
	v_lshlrev_b64 v[20:21], s18, v[20:21]
	s_add_u32 s18, s18, 8
	s_addc_u32 s19, s19, 0
	v_or_b32_e32 v17, v21, v17
	s_or_b64 s[16:17], vcc, s[16:17]
	v_or_b32_e32 v16, v20, v16
	s_andn2_b64 exec, exec, s[16:17]
	s_cbranch_execnz .LBB21_22
; %bb.23:                               ;   in Loop: Header=BB21_3 Depth=1
	s_or_b64 exec, exec, s[16:17]
.LBB21_24:                              ;   in Loop: Header=BB21_3 Depth=1
	s_or_b64 exec, exec, s[14:15]
	s_mov_b32 s14, 0
                                        ; implicit-def: $vgpr18
.LBB21_25:                              ;   in Loop: Header=BB21_3 Depth=1
	s_or_saveexec_b64 s[4:5], s[4:5]
	v_mov_b32_e32 v7, s14
	s_xor_b64 exec, exec, s[4:5]
	s_cbranch_execz .LBB21_27
; %bb.26:                               ;   in Loop: Header=BB21_3 Depth=1
	flat_load_dwordx2 v[16:17], v[10:11]
	v_add_u32_e32 v7, -8, v18
	v_add_co_u32_e32 v10, vcc, 8, v10
	v_addc_co_u32_e32 v11, vcc, 0, v11, vcc
	s_waitcnt vmcnt(0) lgkmcnt(0)
	v_and_b32_e32 v18, 0xff, v17
	v_and_b32_e32 v19, 0xff00, v17
	;; [unrolled: 1-line block ×4, first 2 shown]
	v_or_b32_e32 v18, v18, v19
	v_or3_b32 v16, v16, 0, 0
	v_or3_b32 v17, v18, v20, v17
.LBB21_27:                              ;   in Loop: Header=BB21_3 Depth=1
	s_or_b64 exec, exec, s[4:5]
	v_cmp_gt_u32_e32 vcc, 8, v7
                                        ; implicit-def: $vgpr18_vgpr19
                                        ; implicit-def: $sgpr14
	s_and_saveexec_b64 s[4:5], vcc
	s_xor_b64 s[4:5], exec, s[4:5]
	s_cbranch_execz .LBB21_33
; %bb.28:                               ;   in Loop: Header=BB21_3 Depth=1
	v_cmp_ne_u32_e32 vcc, 0, v7
	v_pk_mov_b32 v[18:19], 0, 0
	s_and_saveexec_b64 s[14:15], vcc
	s_cbranch_execz .LBB21_32
; %bb.29:                               ;   in Loop: Header=BB21_3 Depth=1
	s_mov_b64 s[16:17], 0
	v_pk_mov_b32 v[18:19], 0, 0
	s_mov_b64 s[18:19], 0
	s_mov_b64 s[20:21], 0
.LBB21_30:                              ;   Parent Loop BB21_3 Depth=1
                                        ; =>  This Inner Loop Header: Depth=2
	v_mov_b32_e32 v21, s21
	v_add_co_u32_e32 v20, vcc, s20, v10
	v_addc_co_u32_e32 v21, vcc, v11, v21, vcc
	flat_load_ubyte v20, v[20:21]
	s_add_u32 s20, s20, 1
	v_mov_b32_e32 v21, s22
	s_addc_u32 s21, s21, 0
	v_cmp_eq_u32_e32 vcc, s20, v7
	s_waitcnt vmcnt(0) lgkmcnt(0)
	v_and_b32_e32 v20, 0xffff, v20
	v_lshlrev_b64 v[20:21], s18, v[20:21]
	s_add_u32 s18, s18, 8
	s_addc_u32 s19, s19, 0
	v_or_b32_e32 v19, v21, v19
	s_or_b64 s[16:17], vcc, s[16:17]
	v_or_b32_e32 v18, v20, v18
	s_andn2_b64 exec, exec, s[16:17]
	s_cbranch_execnz .LBB21_30
; %bb.31:                               ;   in Loop: Header=BB21_3 Depth=1
	s_or_b64 exec, exec, s[16:17]
.LBB21_32:                              ;   in Loop: Header=BB21_3 Depth=1
	s_or_b64 exec, exec, s[14:15]
	s_mov_b32 s14, 0
                                        ; implicit-def: $vgpr7
.LBB21_33:                              ;   in Loop: Header=BB21_3 Depth=1
	s_or_saveexec_b64 s[4:5], s[4:5]
	v_mov_b32_e32 v22, s14
	s_xor_b64 exec, exec, s[4:5]
	s_cbranch_execz .LBB21_35
; %bb.34:                               ;   in Loop: Header=BB21_3 Depth=1
	flat_load_dwordx2 v[18:19], v[10:11]
	v_add_u32_e32 v22, -8, v7
	v_add_co_u32_e32 v10, vcc, 8, v10
	v_addc_co_u32_e32 v11, vcc, 0, v11, vcc
	s_waitcnt vmcnt(0) lgkmcnt(0)
	v_and_b32_e32 v7, 0xff, v19
	v_and_b32_e32 v20, 0xff00, v19
	;; [unrolled: 1-line block ×4, first 2 shown]
	v_or_b32_e32 v7, v7, v20
	v_or3_b32 v18, v18, 0, 0
	v_or3_b32 v19, v7, v21, v19
.LBB21_35:                              ;   in Loop: Header=BB21_3 Depth=1
	s_or_b64 exec, exec, s[4:5]
	v_cmp_gt_u32_e32 vcc, 8, v22
                                        ; implicit-def: $sgpr14
	s_and_saveexec_b64 s[4:5], vcc
	s_xor_b64 s[4:5], exec, s[4:5]
	s_cbranch_execz .LBB21_41
; %bb.36:                               ;   in Loop: Header=BB21_3 Depth=1
	v_cmp_ne_u32_e32 vcc, 0, v22
	v_pk_mov_b32 v[20:21], 0, 0
	s_and_saveexec_b64 s[14:15], vcc
	s_cbranch_execz .LBB21_40
; %bb.37:                               ;   in Loop: Header=BB21_3 Depth=1
	s_mov_b64 s[16:17], 0
	v_pk_mov_b32 v[20:21], 0, 0
	s_mov_b64 s[18:19], 0
	s_mov_b64 s[20:21], 0
.LBB21_38:                              ;   Parent Loop BB21_3 Depth=1
                                        ; =>  This Inner Loop Header: Depth=2
	v_mov_b32_e32 v7, s21
	v_add_co_u32_e32 v24, vcc, s20, v10
	v_addc_co_u32_e32 v25, vcc, v11, v7, vcc
	flat_load_ubyte v7, v[24:25]
	s_add_u32 s20, s20, 1
	v_mov_b32_e32 v25, s22
	s_addc_u32 s21, s21, 0
	v_cmp_eq_u32_e32 vcc, s20, v22
	s_waitcnt vmcnt(0) lgkmcnt(0)
	v_and_b32_e32 v24, 0xffff, v7
	v_lshlrev_b64 v[24:25], s18, v[24:25]
	s_add_u32 s18, s18, 8
	s_addc_u32 s19, s19, 0
	v_or_b32_e32 v21, v25, v21
	s_or_b64 s[16:17], vcc, s[16:17]
	v_or_b32_e32 v20, v24, v20
	s_andn2_b64 exec, exec, s[16:17]
	s_cbranch_execnz .LBB21_38
; %bb.39:                               ;   in Loop: Header=BB21_3 Depth=1
	s_or_b64 exec, exec, s[16:17]
.LBB21_40:                              ;   in Loop: Header=BB21_3 Depth=1
	s_or_b64 exec, exec, s[14:15]
	s_mov_b32 s14, 0
                                        ; implicit-def: $vgpr22
.LBB21_41:                              ;   in Loop: Header=BB21_3 Depth=1
	s_or_saveexec_b64 s[4:5], s[4:5]
	v_mov_b32_e32 v7, s14
	s_xor_b64 exec, exec, s[4:5]
	s_cbranch_execz .LBB21_43
; %bb.42:                               ;   in Loop: Header=BB21_3 Depth=1
	flat_load_dwordx2 v[20:21], v[10:11]
	v_add_u32_e32 v7, -8, v22
	v_add_co_u32_e32 v10, vcc, 8, v10
	v_addc_co_u32_e32 v11, vcc, 0, v11, vcc
	s_waitcnt vmcnt(0) lgkmcnt(0)
	v_and_b32_e32 v22, 0xff, v21
	v_and_b32_e32 v23, 0xff00, v21
	;; [unrolled: 1-line block ×4, first 2 shown]
	v_or_b32_e32 v22, v22, v23
	v_or3_b32 v20, v20, 0, 0
	v_or3_b32 v21, v22, v24, v21
.LBB21_43:                              ;   in Loop: Header=BB21_3 Depth=1
	s_or_b64 exec, exec, s[4:5]
	v_cmp_gt_u32_e32 vcc, 8, v7
                                        ; implicit-def: $vgpr22_vgpr23
                                        ; implicit-def: $sgpr14
	s_and_saveexec_b64 s[4:5], vcc
	s_xor_b64 s[4:5], exec, s[4:5]
	s_cbranch_execz .LBB21_49
; %bb.44:                               ;   in Loop: Header=BB21_3 Depth=1
	v_cmp_ne_u32_e32 vcc, 0, v7
	v_pk_mov_b32 v[22:23], 0, 0
	s_and_saveexec_b64 s[14:15], vcc
	s_cbranch_execz .LBB21_48
; %bb.45:                               ;   in Loop: Header=BB21_3 Depth=1
	s_mov_b64 s[16:17], 0
	v_pk_mov_b32 v[22:23], 0, 0
	s_mov_b64 s[18:19], 0
	s_mov_b64 s[20:21], 0
.LBB21_46:                              ;   Parent Loop BB21_3 Depth=1
                                        ; =>  This Inner Loop Header: Depth=2
	v_mov_b32_e32 v25, s21
	v_add_co_u32_e32 v24, vcc, s20, v10
	v_addc_co_u32_e32 v25, vcc, v11, v25, vcc
	flat_load_ubyte v24, v[24:25]
	s_add_u32 s20, s20, 1
	v_mov_b32_e32 v25, s22
	s_addc_u32 s21, s21, 0
	v_cmp_eq_u32_e32 vcc, s20, v7
	s_waitcnt vmcnt(0) lgkmcnt(0)
	v_and_b32_e32 v24, 0xffff, v24
	v_lshlrev_b64 v[24:25], s18, v[24:25]
	s_add_u32 s18, s18, 8
	s_addc_u32 s19, s19, 0
	v_or_b32_e32 v23, v25, v23
	s_or_b64 s[16:17], vcc, s[16:17]
	v_or_b32_e32 v22, v24, v22
	s_andn2_b64 exec, exec, s[16:17]
	s_cbranch_execnz .LBB21_46
; %bb.47:                               ;   in Loop: Header=BB21_3 Depth=1
	s_or_b64 exec, exec, s[16:17]
.LBB21_48:                              ;   in Loop: Header=BB21_3 Depth=1
	s_or_b64 exec, exec, s[14:15]
	s_mov_b32 s14, 0
                                        ; implicit-def: $vgpr7
.LBB21_49:                              ;   in Loop: Header=BB21_3 Depth=1
	s_or_saveexec_b64 s[4:5], s[4:5]
	v_mov_b32_e32 v26, s14
	s_xor_b64 exec, exec, s[4:5]
	s_cbranch_execz .LBB21_51
; %bb.50:                               ;   in Loop: Header=BB21_3 Depth=1
	flat_load_dwordx2 v[22:23], v[10:11]
	v_add_u32_e32 v26, -8, v7
	v_add_co_u32_e32 v10, vcc, 8, v10
	v_addc_co_u32_e32 v11, vcc, 0, v11, vcc
	s_waitcnt vmcnt(0) lgkmcnt(0)
	v_and_b32_e32 v7, 0xff, v23
	v_and_b32_e32 v24, 0xff00, v23
	;; [unrolled: 1-line block ×4, first 2 shown]
	v_or_b32_e32 v7, v7, v24
	v_or3_b32 v22, v22, 0, 0
	v_or3_b32 v23, v7, v25, v23
.LBB21_51:                              ;   in Loop: Header=BB21_3 Depth=1
	s_or_b64 exec, exec, s[4:5]
	v_cmp_gt_u32_e32 vcc, 8, v26
	s_and_saveexec_b64 s[4:5], vcc
	s_xor_b64 s[4:5], exec, s[4:5]
	s_cbranch_execz .LBB21_57
; %bb.52:                               ;   in Loop: Header=BB21_3 Depth=1
	v_cmp_ne_u32_e32 vcc, 0, v26
	v_pk_mov_b32 v[24:25], 0, 0
	s_and_saveexec_b64 s[14:15], vcc
	s_cbranch_execz .LBB21_56
; %bb.53:                               ;   in Loop: Header=BB21_3 Depth=1
	s_mov_b64 s[16:17], 0
	v_pk_mov_b32 v[24:25], 0, 0
	s_mov_b64 s[18:19], 0
.LBB21_54:                              ;   Parent Loop BB21_3 Depth=1
                                        ; =>  This Inner Loop Header: Depth=2
	flat_load_ubyte v7, v[10:11]
	v_mov_b32_e32 v29, s22
	v_add_co_u32_e32 v10, vcc, 1, v10
	v_add_u32_e32 v26, -1, v26
	v_addc_co_u32_e32 v11, vcc, 0, v11, vcc
	v_cmp_eq_u32_e32 vcc, 0, v26
	s_waitcnt vmcnt(0) lgkmcnt(0)
	v_and_b32_e32 v28, 0xffff, v7
	v_lshlrev_b64 v[28:29], s18, v[28:29]
	s_add_u32 s18, s18, 8
	s_addc_u32 s19, s19, 0
	v_or_b32_e32 v25, v29, v25
	s_or_b64 s[16:17], vcc, s[16:17]
	v_or_b32_e32 v24, v28, v24
	s_andn2_b64 exec, exec, s[16:17]
	s_cbranch_execnz .LBB21_54
; %bb.55:                               ;   in Loop: Header=BB21_3 Depth=1
	s_or_b64 exec, exec, s[16:17]
.LBB21_56:                              ;   in Loop: Header=BB21_3 Depth=1
	s_or_b64 exec, exec, s[14:15]
                                        ; implicit-def: $vgpr10_vgpr11
.LBB21_57:                              ;   in Loop: Header=BB21_3 Depth=1
	s_andn2_saveexec_b64 s[4:5], s[4:5]
	s_cbranch_execz .LBB21_59
; %bb.58:                               ;   in Loop: Header=BB21_3 Depth=1
	flat_load_dwordx2 v[10:11], v[10:11]
	s_waitcnt vmcnt(0) lgkmcnt(0)
	v_and_b32_e32 v7, 0xff, v11
	v_and_b32_e32 v24, 0xff00, v11
	;; [unrolled: 1-line block ×4, first 2 shown]
	v_or_b32_e32 v7, v7, v24
	v_or3_b32 v25, v7, v25, v11
	v_or3_b32 v24, v10, 0, 0
.LBB21_59:                              ;   in Loop: Header=BB21_3 Depth=1
	s_or_b64 exec, exec, s[4:5]
	v_readfirstlane_b32 s4, v32
	v_cmp_eq_u32_e64 s[4:5], s4, v32
	v_pk_mov_b32 v[10:11], 0, 0
	s_and_saveexec_b64 s[14:15], s[4:5]
	s_cbranch_execz .LBB21_65
; %bb.60:                               ;   in Loop: Header=BB21_3 Depth=1
	s_waitcnt lgkmcnt(0)
	global_load_dwordx2 v[28:29], v31, s[12:13] offset:24 glc
	s_waitcnt vmcnt(0)
	buffer_invl2
	buffer_wbinvl1_vol
	global_load_dwordx2 v[10:11], v31, s[12:13] offset:40
	global_load_dwordx2 v[26:27], v31, s[12:13]
	s_waitcnt vmcnt(1)
	v_and_b32_e32 v7, v10, v28
	v_and_b32_e32 v10, v11, v29
	v_mul_lo_u32 v10, v10, 24
	v_mul_hi_u32 v11, v7, 24
	v_mul_lo_u32 v7, v7, 24
	v_add_u32_e32 v11, v11, v10
	s_waitcnt vmcnt(0)
	v_add_co_u32_e32 v10, vcc, v26, v7
	v_addc_co_u32_e32 v11, vcc, v27, v11, vcc
	global_load_dwordx2 v[26:27], v[10:11], off glc
	s_waitcnt vmcnt(0)
	global_atomic_cmpswap_x2 v[10:11], v31, v[26:29], s[12:13] offset:24 glc
	s_waitcnt vmcnt(0)
	buffer_invl2
	buffer_wbinvl1_vol
	v_cmp_ne_u64_e32 vcc, v[10:11], v[28:29]
	s_and_saveexec_b64 s[16:17], vcc
	s_cbranch_execz .LBB21_64
; %bb.61:                               ;   in Loop: Header=BB21_3 Depth=1
	s_mov_b64 s[18:19], 0
.LBB21_62:                              ;   Parent Loop BB21_3 Depth=1
                                        ; =>  This Inner Loop Header: Depth=2
	s_sleep 1
	global_load_dwordx2 v[26:27], v31, s[12:13] offset:40
	global_load_dwordx2 v[36:37], v31, s[12:13]
	v_pk_mov_b32 v[28:29], v[10:11], v[10:11] op_sel:[0,1]
	s_waitcnt vmcnt(1)
	v_and_b32_e32 v10, v26, v28
	s_waitcnt vmcnt(0)
	v_mad_u64_u32 v[10:11], s[20:21], v10, 24, v[36:37]
	v_and_b32_e32 v7, v27, v29
	v_mov_b32_e32 v26, v11
	v_mad_u64_u32 v[26:27], s[20:21], v7, 24, v[26:27]
	v_mov_b32_e32 v11, v26
	global_load_dwordx2 v[26:27], v[10:11], off glc
	s_waitcnt vmcnt(0)
	global_atomic_cmpswap_x2 v[10:11], v31, v[26:29], s[12:13] offset:24 glc
	s_waitcnt vmcnt(0)
	buffer_invl2
	buffer_wbinvl1_vol
	v_cmp_eq_u64_e32 vcc, v[10:11], v[28:29]
	s_or_b64 s[18:19], vcc, s[18:19]
	s_andn2_b64 exec, exec, s[18:19]
	s_cbranch_execnz .LBB21_62
; %bb.63:                               ;   in Loop: Header=BB21_3 Depth=1
	s_or_b64 exec, exec, s[18:19]
.LBB21_64:                              ;   in Loop: Header=BB21_3 Depth=1
	s_or_b64 exec, exec, s[16:17]
.LBB21_65:                              ;   in Loop: Header=BB21_3 Depth=1
	s_or_b64 exec, exec, s[14:15]
	s_waitcnt lgkmcnt(0)
	global_load_dwordx2 v[36:37], v31, s[12:13] offset:40
	global_load_dwordx4 v[26:29], v31, s[12:13]
	v_readfirstlane_b32 s14, v10
	v_readfirstlane_b32 s15, v11
	s_mov_b64 s[16:17], exec
	s_waitcnt vmcnt(1)
	v_readfirstlane_b32 s18, v36
	v_readfirstlane_b32 s19, v37
	s_and_b64 s[18:19], s[14:15], s[18:19]
	s_mul_i32 s20, s19, 24
	s_mul_hi_u32 s21, s18, 24
	s_mul_i32 s24, s18, 24
	s_add_i32 s20, s21, s20
	v_mov_b32_e32 v7, s20
	s_waitcnt vmcnt(0)
	v_add_co_u32_e32 v36, vcc, s24, v26
	v_addc_co_u32_e32 v37, vcc, v27, v7, vcc
	s_and_saveexec_b64 s[20:21], s[4:5]
	s_cbranch_execz .LBB21_67
; %bb.66:                               ;   in Loop: Header=BB21_3 Depth=1
	v_pk_mov_b32 v[10:11], s[16:17], s[16:17] op_sel:[0,1]
	global_store_dwordx4 v[36:37], v[10:13], off offset:8
.LBB21_67:                              ;   in Loop: Header=BB21_3 Depth=1
	s_or_b64 exec, exec, s[20:21]
	s_lshl_b64 s[16:17], s[18:19], 12
	v_mov_b32_e32 v7, s17
	v_add_co_u32_e32 v10, vcc, s16, v28
	v_addc_co_u32_e32 v7, vcc, v29, v7, vcc
	v_or_b32_e32 v11, 0, v1
	v_cmp_lt_u64_e32 vcc, 56, v[4:5]
	v_or_b32_e32 v28, v0, v6
	v_cndmask_b32_e32 v1, v11, v1, vcc
	v_lshl_add_u32 v11, v34, 2, 28
	v_cndmask_b32_e32 v0, v28, v0, vcc
	v_and_b32_e32 v11, 0x1e0, v11
	v_and_or_b32 v0, v0, s23, v11
	v_lshlrev_b32_e32 v11, 6, v32
	v_readfirstlane_b32 s16, v10
	v_readfirstlane_b32 s17, v7
	s_nop 4
	global_store_dwordx4 v11, v[0:3], s[16:17]
	global_store_dwordx4 v11, v[14:17], s[16:17] offset:16
	global_store_dwordx4 v11, v[18:21], s[16:17] offset:32
	;; [unrolled: 1-line block ×3, first 2 shown]
	s_and_saveexec_b64 s[16:17], s[4:5]
	s_cbranch_execz .LBB21_75
; %bb.68:                               ;   in Loop: Header=BB21_3 Depth=1
	global_load_dwordx2 v[18:19], v31, s[12:13] offset:32 glc
	global_load_dwordx2 v[0:1], v31, s[12:13] offset:40
	v_mov_b32_e32 v16, s14
	v_mov_b32_e32 v17, s15
	s_waitcnt vmcnt(0)
	v_readfirstlane_b32 s18, v0
	v_readfirstlane_b32 s19, v1
	s_and_b64 s[18:19], s[18:19], s[14:15]
	s_mul_i32 s19, s19, 24
	s_mul_hi_u32 s20, s18, 24
	s_mul_i32 s18, s18, 24
	s_add_i32 s19, s20, s19
	v_mov_b32_e32 v0, s19
	v_add_co_u32_e32 v14, vcc, s18, v26
	v_addc_co_u32_e32 v15, vcc, v27, v0, vcc
	global_store_dwordx2 v[14:15], v[18:19], off
	buffer_wbl2
	s_waitcnt vmcnt(0)
	global_atomic_cmpswap_x2 v[2:3], v31, v[16:19], s[12:13] offset:32 glc
	s_waitcnt vmcnt(0)
	v_cmp_ne_u64_e32 vcc, v[2:3], v[18:19]
	s_and_saveexec_b64 s[18:19], vcc
	s_cbranch_execz .LBB21_71
; %bb.69:                               ;   in Loop: Header=BB21_3 Depth=1
	s_mov_b64 s[20:21], 0
.LBB21_70:                              ;   Parent Loop BB21_3 Depth=1
                                        ; =>  This Inner Loop Header: Depth=2
	s_sleep 1
	global_store_dwordx2 v[14:15], v[2:3], off
	v_mov_b32_e32 v0, s14
	v_mov_b32_e32 v1, s15
	buffer_wbl2
	s_waitcnt vmcnt(0)
	global_atomic_cmpswap_x2 v[0:1], v31, v[0:3], s[12:13] offset:32 glc
	s_waitcnt vmcnt(0)
	v_cmp_eq_u64_e32 vcc, v[0:1], v[2:3]
	s_or_b64 s[20:21], vcc, s[20:21]
	v_pk_mov_b32 v[2:3], v[0:1], v[0:1] op_sel:[0,1]
	s_andn2_b64 exec, exec, s[20:21]
	s_cbranch_execnz .LBB21_70
.LBB21_71:                              ;   in Loop: Header=BB21_3 Depth=1
	s_or_b64 exec, exec, s[18:19]
	global_load_dwordx2 v[0:1], v31, s[12:13] offset:16
	s_mov_b64 s[20:21], exec
	v_mbcnt_lo_u32_b32 v2, s20, 0
	v_mbcnt_hi_u32_b32 v2, s21, v2
	v_cmp_eq_u32_e32 vcc, 0, v2
	s_and_saveexec_b64 s[18:19], vcc
	s_cbranch_execz .LBB21_73
; %bb.72:                               ;   in Loop: Header=BB21_3 Depth=1
	s_bcnt1_i32_b64 s20, s[20:21]
	v_mov_b32_e32 v30, s20
	buffer_wbl2
	s_waitcnt vmcnt(0)
	global_atomic_add_x2 v[0:1], v[30:31], off offset:8
.LBB21_73:                              ;   in Loop: Header=BB21_3 Depth=1
	s_or_b64 exec, exec, s[18:19]
	s_waitcnt vmcnt(0)
	global_load_dwordx2 v[2:3], v[0:1], off offset:16
	s_waitcnt vmcnt(0)
	v_cmp_eq_u64_e32 vcc, 0, v[2:3]
	s_cbranch_vccnz .LBB21_75
; %bb.74:                               ;   in Loop: Header=BB21_3 Depth=1
	global_load_dword v30, v[0:1], off offset:24
	s_waitcnt vmcnt(0)
	v_and_b32_e32 v0, 0xffffff, v30
	v_readfirstlane_b32 m0, v0
	buffer_wbl2
	global_store_dwordx2 v[2:3], v[30:31], off
	s_sendmsg sendmsg(MSG_INTERRUPT)
.LBB21_75:                              ;   in Loop: Header=BB21_3 Depth=1
	s_or_b64 exec, exec, s[16:17]
	v_add_co_u32_e32 v0, vcc, v10, v11
	v_addc_co_u32_e32 v1, vcc, 0, v7, vcc
	s_branch .LBB21_79
.LBB21_76:                              ;   in Loop: Header=BB21_79 Depth=2
	s_or_b64 exec, exec, s[16:17]
	v_readfirstlane_b32 s16, v2
	s_cmp_eq_u32 s16, 0
	s_cbranch_scc1 .LBB21_78
; %bb.77:                               ;   in Loop: Header=BB21_79 Depth=2
	s_sleep 1
	s_cbranch_execnz .LBB21_79
	s_branch .LBB21_81
.LBB21_78:                              ;   in Loop: Header=BB21_3 Depth=1
	s_branch .LBB21_81
.LBB21_79:                              ;   Parent Loop BB21_3 Depth=1
                                        ; =>  This Inner Loop Header: Depth=2
	v_mov_b32_e32 v2, 1
	s_and_saveexec_b64 s[16:17], s[4:5]
	s_cbranch_execz .LBB21_76
; %bb.80:                               ;   in Loop: Header=BB21_79 Depth=2
	global_load_dword v2, v[36:37], off offset:20 glc
	s_waitcnt vmcnt(0)
	buffer_invl2
	buffer_wbinvl1_vol
	v_and_b32_e32 v2, 1, v2
	s_branch .LBB21_76
.LBB21_81:                              ;   in Loop: Header=BB21_3 Depth=1
	global_load_dwordx4 v[0:3], v[0:1], off
	s_and_saveexec_b64 s[16:17], s[4:5]
	s_cbranch_execz .LBB21_2
; %bb.82:                               ;   in Loop: Header=BB21_3 Depth=1
	global_load_dwordx2 v[2:3], v31, s[12:13] offset:40
	global_load_dwordx2 v[10:11], v31, s[12:13] offset:24 glc
	global_load_dwordx2 v[18:19], v31, s[12:13]
	v_mov_b32_e32 v7, s15
	s_waitcnt vmcnt(2)
	v_add_co_u32_e32 v17, vcc, 1, v2
	v_addc_co_u32_e32 v20, vcc, 0, v3, vcc
	v_add_co_u32_e32 v14, vcc, s14, v17
	v_addc_co_u32_e32 v15, vcc, v20, v7, vcc
	v_cmp_eq_u64_e32 vcc, 0, v[14:15]
	v_cndmask_b32_e32 v15, v15, v20, vcc
	v_cndmask_b32_e32 v14, v14, v17, vcc
	v_and_b32_e32 v3, v15, v3
	v_and_b32_e32 v2, v14, v2
	v_mul_lo_u32 v3, v3, 24
	v_mul_hi_u32 v7, v2, 24
	v_mul_lo_u32 v2, v2, 24
	v_add_u32_e32 v3, v7, v3
	s_waitcnt vmcnt(0)
	v_add_co_u32_e32 v2, vcc, v18, v2
	v_addc_co_u32_e32 v3, vcc, v19, v3, vcc
	v_mov_b32_e32 v16, v10
	global_store_dwordx2 v[2:3], v[10:11], off
	v_mov_b32_e32 v17, v11
	buffer_wbl2
	s_waitcnt vmcnt(0)
	global_atomic_cmpswap_x2 v[16:17], v31, v[14:17], s[12:13] offset:24 glc
	s_waitcnt vmcnt(0)
	v_cmp_ne_u64_e32 vcc, v[16:17], v[10:11]
	s_and_b64 exec, exec, vcc
	s_cbranch_execz .LBB21_2
; %bb.83:                               ;   in Loop: Header=BB21_3 Depth=1
	s_mov_b64 s[4:5], 0
.LBB21_84:                              ;   Parent Loop BB21_3 Depth=1
                                        ; =>  This Inner Loop Header: Depth=2
	s_sleep 1
	global_store_dwordx2 v[2:3], v[16:17], off
	buffer_wbl2
	s_waitcnt vmcnt(0)
	global_atomic_cmpswap_x2 v[10:11], v31, v[14:17], s[12:13] offset:24 glc
	s_waitcnt vmcnt(0)
	v_cmp_eq_u64_e32 vcc, v[10:11], v[16:17]
	s_or_b64 s[4:5], vcc, s[4:5]
	v_pk_mov_b32 v[16:17], v[10:11], v[10:11] op_sel:[0,1]
	s_andn2_b64 exec, exec, s[4:5]
	s_cbranch_execnz .LBB21_84
	s_branch .LBB21_2
.LBB21_85:
	s_or_b64 exec, exec, s[6:7]
                                        ; implicit-def: $vgpr0
                                        ; implicit-def: $vgpr1
                                        ; implicit-def: $vgpr2
.LBB21_86:
	s_andn2_saveexec_b64 s[6:7], s[10:11]
	s_cbranch_execz .LBB21_109
; %bb.87:
	s_load_dwordx2 s[8:9], s[8:9], 0x50
	s_waitcnt vmcnt(0)
	v_mbcnt_hi_u32_b32 v3, -1, v2
	v_readfirstlane_b32 s4, v3
	v_cmp_eq_u32_e64 s[4:5], s4, v3
	v_pk_mov_b32 v[8:9], 0, 0
	s_and_saveexec_b64 s[10:11], s[4:5]
	s_cbranch_execz .LBB21_93
; %bb.88:
	v_mov_b32_e32 v2, 0
	s_waitcnt lgkmcnt(0)
	global_load_dwordx2 v[6:7], v2, s[8:9] offset:24 glc
	s_waitcnt vmcnt(0)
	buffer_invl2
	buffer_wbinvl1_vol
	global_load_dwordx2 v[4:5], v2, s[8:9] offset:40
	global_load_dwordx2 v[8:9], v2, s[8:9]
	s_waitcnt vmcnt(1)
	v_and_b32_e32 v4, v4, v6
	v_and_b32_e32 v5, v5, v7
	v_mul_lo_u32 v5, v5, 24
	v_mul_hi_u32 v10, v4, 24
	v_mul_lo_u32 v4, v4, 24
	v_add_u32_e32 v5, v10, v5
	s_waitcnt vmcnt(0)
	v_add_co_u32_e32 v4, vcc, v8, v4
	v_addc_co_u32_e32 v5, vcc, v9, v5, vcc
	global_load_dwordx2 v[4:5], v[4:5], off glc
	s_waitcnt vmcnt(0)
	global_atomic_cmpswap_x2 v[8:9], v2, v[4:7], s[8:9] offset:24 glc
	s_waitcnt vmcnt(0)
	buffer_invl2
	buffer_wbinvl1_vol
	v_cmp_ne_u64_e32 vcc, v[8:9], v[6:7]
	s_and_saveexec_b64 s[12:13], vcc
	s_cbranch_execz .LBB21_92
; %bb.89:
	s_mov_b64 s[14:15], 0
.LBB21_90:                              ; =>This Inner Loop Header: Depth=1
	s_sleep 1
	global_load_dwordx2 v[4:5], v2, s[8:9] offset:40
	global_load_dwordx2 v[10:11], v2, s[8:9]
	v_pk_mov_b32 v[6:7], v[8:9], v[8:9] op_sel:[0,1]
	s_waitcnt vmcnt(1)
	v_and_b32_e32 v4, v4, v6
	v_and_b32_e32 v9, v5, v7
	s_waitcnt vmcnt(0)
	v_mad_u64_u32 v[4:5], s[16:17], v4, 24, v[10:11]
	v_mov_b32_e32 v8, v5
	v_mad_u64_u32 v[8:9], s[16:17], v9, 24, v[8:9]
	v_mov_b32_e32 v5, v8
	global_load_dwordx2 v[4:5], v[4:5], off glc
	s_waitcnt vmcnt(0)
	global_atomic_cmpswap_x2 v[8:9], v2, v[4:7], s[8:9] offset:24 glc
	s_waitcnt vmcnt(0)
	buffer_invl2
	buffer_wbinvl1_vol
	v_cmp_eq_u64_e32 vcc, v[8:9], v[6:7]
	s_or_b64 s[14:15], vcc, s[14:15]
	s_andn2_b64 exec, exec, s[14:15]
	s_cbranch_execnz .LBB21_90
; %bb.91:
	s_or_b64 exec, exec, s[14:15]
.LBB21_92:
	s_or_b64 exec, exec, s[12:13]
.LBB21_93:
	s_or_b64 exec, exec, s[10:11]
	v_mov_b32_e32 v2, 0
	s_waitcnt lgkmcnt(0)
	global_load_dwordx2 v[10:11], v2, s[8:9] offset:40
	global_load_dwordx4 v[4:7], v2, s[8:9]
	v_readfirstlane_b32 s10, v8
	v_readfirstlane_b32 s11, v9
	s_mov_b64 s[12:13], exec
	s_waitcnt vmcnt(1)
	v_readfirstlane_b32 s14, v10
	v_readfirstlane_b32 s15, v11
	s_and_b64 s[14:15], s[10:11], s[14:15]
	s_mul_i32 s16, s15, 24
	s_mul_hi_u32 s17, s14, 24
	s_mul_i32 s18, s14, 24
	s_add_i32 s16, s17, s16
	v_mov_b32_e32 v9, s16
	s_waitcnt vmcnt(0)
	v_add_co_u32_e32 v8, vcc, s18, v4
	v_addc_co_u32_e32 v9, vcc, v5, v9, vcc
	s_and_saveexec_b64 s[16:17], s[4:5]
	s_cbranch_execz .LBB21_95
; %bb.94:
	v_pk_mov_b32 v[10:11], s[12:13], s[12:13] op_sel:[0,1]
	v_mov_b32_e32 v12, 2
	v_mov_b32_e32 v13, 1
	global_store_dwordx4 v[8:9], v[10:13], off offset:8
.LBB21_95:
	s_or_b64 exec, exec, s[16:17]
	s_lshl_b64 s[12:13], s[14:15], 12
	v_mov_b32_e32 v10, s13
	v_add_co_u32_e32 v6, vcc, s12, v6
	s_movk_i32 s12, 0xff1f
	v_addc_co_u32_e32 v7, vcc, v7, v10, vcc
	v_and_or_b32 v0, v0, s12, 32
	s_mov_b32 s12, 0
	v_lshlrev_b32_e32 v10, 6, v3
	v_mov_b32_e32 v3, v2
	v_readfirstlane_b32 s16, v6
	v_readfirstlane_b32 s17, v7
	s_mov_b32 s13, s12
	s_mov_b32 s14, s12
	;; [unrolled: 1-line block ×3, first 2 shown]
	s_nop 1
	global_store_dwordx4 v10, v[0:3], s[16:17]
	s_nop 0
	v_pk_mov_b32 v[0:1], s[12:13], s[12:13] op_sel:[0,1]
	v_pk_mov_b32 v[2:3], s[14:15], s[14:15] op_sel:[0,1]
	global_store_dwordx4 v10, v[0:3], s[16:17] offset:16
	global_store_dwordx4 v10, v[0:3], s[16:17] offset:32
	;; [unrolled: 1-line block ×3, first 2 shown]
	s_and_saveexec_b64 s[12:13], s[4:5]
	s_cbranch_execz .LBB21_103
; %bb.96:
	v_mov_b32_e32 v6, 0
	global_load_dwordx2 v[12:13], v6, s[8:9] offset:32 glc
	global_load_dwordx2 v[0:1], v6, s[8:9] offset:40
	v_mov_b32_e32 v10, s10
	v_mov_b32_e32 v11, s11
	s_waitcnt vmcnt(0)
	v_and_b32_e32 v0, s10, v0
	v_and_b32_e32 v1, s11, v1
	v_mul_lo_u32 v1, v1, 24
	v_mul_hi_u32 v2, v0, 24
	v_mul_lo_u32 v0, v0, 24
	v_add_u32_e32 v1, v2, v1
	v_add_co_u32_e32 v4, vcc, v4, v0
	v_addc_co_u32_e32 v5, vcc, v5, v1, vcc
	global_store_dwordx2 v[4:5], v[12:13], off
	buffer_wbl2
	s_waitcnt vmcnt(0)
	global_atomic_cmpswap_x2 v[2:3], v6, v[10:13], s[8:9] offset:32 glc
	s_waitcnt vmcnt(0)
	v_cmp_ne_u64_e32 vcc, v[2:3], v[12:13]
	s_and_saveexec_b64 s[14:15], vcc
	s_cbranch_execz .LBB21_99
; %bb.97:
	s_mov_b64 s[16:17], 0
.LBB21_98:                              ; =>This Inner Loop Header: Depth=1
	s_sleep 1
	global_store_dwordx2 v[4:5], v[2:3], off
	v_mov_b32_e32 v0, s10
	v_mov_b32_e32 v1, s11
	buffer_wbl2
	s_waitcnt vmcnt(0)
	global_atomic_cmpswap_x2 v[0:1], v6, v[0:3], s[8:9] offset:32 glc
	s_waitcnt vmcnt(0)
	v_cmp_eq_u64_e32 vcc, v[0:1], v[2:3]
	s_or_b64 s[16:17], vcc, s[16:17]
	v_pk_mov_b32 v[2:3], v[0:1], v[0:1] op_sel:[0,1]
	s_andn2_b64 exec, exec, s[16:17]
	s_cbranch_execnz .LBB21_98
.LBB21_99:
	s_or_b64 exec, exec, s[14:15]
	v_mov_b32_e32 v3, 0
	global_load_dwordx2 v[0:1], v3, s[8:9] offset:16
	s_mov_b64 s[14:15], exec
	v_mbcnt_lo_u32_b32 v2, s14, 0
	v_mbcnt_hi_u32_b32 v2, s15, v2
	v_cmp_eq_u32_e32 vcc, 0, v2
	s_and_saveexec_b64 s[16:17], vcc
	s_cbranch_execz .LBB21_101
; %bb.100:
	s_bcnt1_i32_b64 s14, s[14:15]
	v_mov_b32_e32 v2, s14
	buffer_wbl2
	s_waitcnt vmcnt(0)
	global_atomic_add_x2 v[0:1], v[2:3], off offset:8
.LBB21_101:
	s_or_b64 exec, exec, s[16:17]
	s_waitcnt vmcnt(0)
	global_load_dwordx2 v[2:3], v[0:1], off offset:16
	s_waitcnt vmcnt(0)
	v_cmp_eq_u64_e32 vcc, 0, v[2:3]
	s_cbranch_vccnz .LBB21_103
; %bb.102:
	global_load_dword v0, v[0:1], off offset:24
	v_mov_b32_e32 v1, 0
	buffer_wbl2
	s_waitcnt vmcnt(0)
	global_store_dwordx2 v[2:3], v[0:1], off
	v_and_b32_e32 v0, 0xffffff, v0
	v_readfirstlane_b32 m0, v0
	s_sendmsg sendmsg(MSG_INTERRUPT)
.LBB21_103:
	s_or_b64 exec, exec, s[12:13]
	s_branch .LBB21_107
.LBB21_104:                             ;   in Loop: Header=BB21_107 Depth=1
	s_or_b64 exec, exec, s[12:13]
	v_readfirstlane_b32 s12, v0
	s_cmp_eq_u32 s12, 0
	s_cbranch_scc1 .LBB21_106
; %bb.105:                              ;   in Loop: Header=BB21_107 Depth=1
	s_sleep 1
	s_cbranch_execnz .LBB21_107
	s_branch .LBB21_110
.LBB21_106:
	s_branch .LBB21_110
.LBB21_107:                             ; =>This Inner Loop Header: Depth=1
	v_mov_b32_e32 v0, 1
	s_and_saveexec_b64 s[12:13], s[4:5]
	s_cbranch_execz .LBB21_104
; %bb.108:                              ;   in Loop: Header=BB21_107 Depth=1
	global_load_dword v0, v[8:9], off offset:20 glc
	s_waitcnt vmcnt(0)
	buffer_invl2
	buffer_wbinvl1_vol
	v_and_b32_e32 v0, 1, v0
	s_branch .LBB21_104
.LBB21_109:
	s_or_b64 exec, exec, s[6:7]
	s_waitcnt vmcnt(0) lgkmcnt(0)
	s_setpc_b64 s[30:31]
.LBB21_110:
	s_and_saveexec_b64 s[12:13], s[4:5]
	s_cbranch_execz .LBB21_113
; %bb.111:
	v_mov_b32_e32 v6, 0
	global_load_dwordx2 v[4:5], v6, s[8:9] offset:40
	global_load_dwordx2 v[8:9], v6, s[8:9] offset:24 glc
	global_load_dwordx2 v[10:11], v6, s[8:9]
	v_mov_b32_e32 v1, s11
	s_mov_b64 s[4:5], 0
	s_waitcnt vmcnt(2)
	v_add_co_u32_e32 v3, vcc, 1, v4
	v_addc_co_u32_e32 v7, vcc, 0, v5, vcc
	v_add_co_u32_e32 v0, vcc, s10, v3
	v_addc_co_u32_e32 v1, vcc, v7, v1, vcc
	v_cmp_eq_u64_e32 vcc, 0, v[0:1]
	v_cndmask_b32_e32 v1, v1, v7, vcc
	v_cndmask_b32_e32 v0, v0, v3, vcc
	v_and_b32_e32 v3, v1, v5
	v_and_b32_e32 v4, v0, v4
	v_mul_lo_u32 v3, v3, 24
	v_mul_hi_u32 v5, v4, 24
	v_mul_lo_u32 v4, v4, 24
	v_add_u32_e32 v3, v5, v3
	s_waitcnt vmcnt(0)
	v_add_co_u32_e32 v4, vcc, v10, v4
	v_addc_co_u32_e32 v5, vcc, v11, v3, vcc
	v_mov_b32_e32 v2, v8
	global_store_dwordx2 v[4:5], v[8:9], off
	v_mov_b32_e32 v3, v9
	buffer_wbl2
	s_waitcnt vmcnt(0)
	global_atomic_cmpswap_x2 v[2:3], v6, v[0:3], s[8:9] offset:24 glc
	s_waitcnt vmcnt(0)
	v_cmp_ne_u64_e32 vcc, v[2:3], v[8:9]
	s_and_b64 exec, exec, vcc
	s_cbranch_execz .LBB21_113
.LBB21_112:                             ; =>This Inner Loop Header: Depth=1
	s_sleep 1
	global_store_dwordx2 v[4:5], v[2:3], off
	buffer_wbl2
	s_waitcnt vmcnt(0)
	global_atomic_cmpswap_x2 v[8:9], v6, v[0:3], s[8:9] offset:24 glc
	s_waitcnt vmcnt(0)
	v_cmp_eq_u64_e32 vcc, v[8:9], v[2:3]
	s_or_b64 s[4:5], vcc, s[4:5]
	v_pk_mov_b32 v[2:3], v[8:9], v[8:9] op_sel:[0,1]
	s_andn2_b64 exec, exec, s[4:5]
	s_cbranch_execnz .LBB21_112
.LBB21_113:
	s_or_b64 exec, exec, s[12:13]
	s_or_b64 exec, exec, s[6:7]
	s_waitcnt vmcnt(0) lgkmcnt(0)
	s_setpc_b64 s[30:31]
.Lfunc_end21:
	.size	__ockl_fprintf_append_string_n, .Lfunc_end21-__ockl_fprintf_append_string_n
                                        ; -- End function
	.section	.AMDGPU.csdata,"",@progbits
; Function info:
; codeLenInByte = 4372
; NumSgprs: 36
; NumVgprs: 38
; NumAgprs: 0
; TotalNumVgprs: 38
; ScratchSize: 0
; MemoryBound: 0
	.text
	.p2align	2                               ; -- Begin function __assert_fail
	.type	__assert_fail,@function
__assert_fail:                          ; @__assert_fail
; %bb.0:
	s_waitcnt vmcnt(0) expcnt(0) lgkmcnt(0)
	s_mov_b32 s25, s33
	s_mov_b32 s33, s32
	s_or_saveexec_b64 s[4:5], -1
	buffer_store_dword v40, off, s[0:3], s33 offset:48 ; 4-byte Folded Spill
	s_mov_b64 exec, s[4:5]
	v_writelane_b32 v40, s30, 0
	s_addk_i32 s32, 0x1000
	v_writelane_b32 v40, s31, 1
	s_getpc_b64 s[4:5]
	s_add_u32 s4, s4, __const.__assert_fail.fmt@rel32@lo+4
	s_addc_u32 s5, s5, __const.__assert_fail.fmt@rel32@hi+12
	s_load_dwordx4 s[4:7], s[4:5], 0x0
	v_mov_b32_e32 v4, v0
	v_mov_b32_e32 v0, 0xa2e
	buffer_store_short v0, off, s[0:3], s33 offset:44
	v_mov_b32_e32 v0, 0x64656c69
	buffer_store_dword v0, off, s[0:3], s33 offset:40
	v_mov_b32_e32 v0, 0x61662027
	s_getpc_b64 s[10:11]
	s_add_u32 s10, s10, __const.__assert_fail.fmt@rel32@lo+20
	s_addc_u32 s11, s11, __const.__assert_fail.fmt@rel32@hi+28
	buffer_store_dword v0, off, s[0:3], s33 offset:36
	v_mov_b32_e32 v0, 0x73256020
	s_load_dwordx4 s[12:15], s[10:11], 0x0
	buffer_store_dword v0, off, s[0:3], s33 offset:32
	s_waitcnt lgkmcnt(0)
	v_mov_b32_e32 v0, s7
	buffer_store_dword v0, off, s[0:3], s33 offset:12
	v_mov_b32_e32 v0, s6
	buffer_store_dword v0, off, s[0:3], s33 offset:8
	;; [unrolled: 2-line block ×3, first 2 shown]
	v_mov_b32_e32 v0, s4
	buffer_store_dword v0, off, s[0:3], s33
	v_mov_b32_e32 v0, s15
	buffer_store_dword v0, off, s[0:3], s33 offset:28
	v_mov_b32_e32 v0, s14
	buffer_store_dword v0, off, s[0:3], s33 offset:24
	;; [unrolled: 2-line block ×3, first 2 shown]
	v_mov_b32_e32 v0, s12
	s_load_dwordx2 s[10:11], s[8:9], 0x50
	buffer_store_dword v0, off, s[0:3], s33 offset:16
	v_mbcnt_lo_u32_b32 v0, -1, 0
	v_mbcnt_hi_u32_b32 v37, -1, v0
	v_readfirstlane_b32 s4, v37
	v_mov_b32_e32 v5, v1
	v_mov_b32_e32 v8, 0
	v_cmp_eq_u32_e64 s[4:5], s4, v37
	v_pk_mov_b32 v[6:7], 0, 0
	buffer_store_byte v8, off, s[0:3], s33 offset:46
	s_and_saveexec_b64 s[6:7], s[4:5]
	s_cbranch_execz .LBB22_6
; %bb.1:
	s_waitcnt lgkmcnt(0)
	global_load_dwordx2 v[2:3], v8, s[10:11] offset:24 glc
	s_waitcnt vmcnt(0)
	buffer_invl2
	buffer_wbinvl1_vol
	global_load_dwordx2 v[0:1], v8, s[10:11] offset:40
	global_load_dwordx2 v[6:7], v8, s[10:11]
	s_waitcnt vmcnt(1)
	v_and_b32_e32 v0, v0, v2
	v_and_b32_e32 v1, v1, v3
	v_mul_lo_u32 v1, v1, 24
	v_mul_hi_u32 v9, v0, 24
	v_mul_lo_u32 v0, v0, 24
	v_add_u32_e32 v1, v9, v1
	s_waitcnt vmcnt(0)
	v_add_co_u32_e32 v0, vcc, v6, v0
	v_addc_co_u32_e32 v1, vcc, v7, v1, vcc
	global_load_dwordx2 v[0:1], v[0:1], off glc
	s_waitcnt vmcnt(0)
	global_atomic_cmpswap_x2 v[6:7], v8, v[0:3], s[10:11] offset:24 glc
	s_waitcnt vmcnt(0)
	buffer_invl2
	buffer_wbinvl1_vol
	v_cmp_ne_u64_e32 vcc, v[6:7], v[2:3]
	s_and_saveexec_b64 s[12:13], vcc
	s_cbranch_execz .LBB22_5
; %bb.2:
	s_mov_b64 s[14:15], 0
.LBB22_3:                               ; =>This Inner Loop Header: Depth=1
	s_sleep 1
	global_load_dwordx2 v[0:1], v8, s[10:11] offset:40
	global_load_dwordx2 v[10:11], v8, s[10:11]
	v_pk_mov_b32 v[2:3], v[6:7], v[6:7] op_sel:[0,1]
	s_waitcnt vmcnt(1)
	v_and_b32_e32 v0, v0, v2
	v_and_b32_e32 v7, v1, v3
	s_waitcnt vmcnt(0)
	v_mad_u64_u32 v[0:1], s[16:17], v0, 24, v[10:11]
	v_mov_b32_e32 v6, v1
	v_mad_u64_u32 v[6:7], s[16:17], v7, 24, v[6:7]
	v_mov_b32_e32 v1, v6
	global_load_dwordx2 v[0:1], v[0:1], off glc
	s_waitcnt vmcnt(0)
	global_atomic_cmpswap_x2 v[6:7], v8, v[0:3], s[10:11] offset:24 glc
	s_waitcnt vmcnt(0)
	buffer_invl2
	buffer_wbinvl1_vol
	v_cmp_eq_u64_e32 vcc, v[6:7], v[2:3]
	s_or_b64 s[14:15], vcc, s[14:15]
	s_andn2_b64 exec, exec, s[14:15]
	s_cbranch_execnz .LBB22_3
; %bb.4:
	s_or_b64 exec, exec, s[14:15]
.LBB22_5:
	s_or_b64 exec, exec, s[12:13]
.LBB22_6:
	s_or_b64 exec, exec, s[6:7]
	s_waitcnt lgkmcnt(0)
	global_load_dwordx2 v[10:11], v8, s[10:11] offset:40
	global_load_dwordx4 v[0:3], v8, s[10:11]
	v_readfirstlane_b32 s6, v6
	v_readfirstlane_b32 s7, v7
	s_mov_b64 s[12:13], exec
	s_waitcnt vmcnt(1)
	v_readfirstlane_b32 s14, v10
	v_readfirstlane_b32 s15, v11
	s_and_b64 s[14:15], s[6:7], s[14:15]
	s_mul_i32 s16, s15, 24
	s_mul_hi_u32 s17, s14, 24
	s_mul_i32 s18, s14, 24
	s_add_i32 s16, s17, s16
	v_mov_b32_e32 v6, s16
	s_waitcnt vmcnt(0)
	v_add_co_u32_e32 v10, vcc, s18, v0
	v_addc_co_u32_e32 v11, vcc, v1, v6, vcc
	s_and_saveexec_b64 s[16:17], s[4:5]
	s_cbranch_execz .LBB22_8
; %bb.7:
	v_pk_mov_b32 v[6:7], s[12:13], s[12:13] op_sel:[0,1]
	v_mov_b32_e32 v8, 2
	v_mov_b32_e32 v9, 1
	global_store_dwordx4 v[10:11], v[6:9], off offset:8
.LBB22_8:
	s_or_b64 exec, exec, s[16:17]
	s_lshl_b64 s[12:13], s[14:15], 12
	v_mov_b32_e32 v6, s13
	v_add_co_u32_e32 v2, vcc, s12, v2
	s_mov_b32 s12, 0
	v_addc_co_u32_e32 v3, vcc, v3, v6, vcc
	v_lshlrev_b32_e32 v36, 6, v37
	s_mov_b32 s14, s12
	s_mov_b32 s15, s12
	v_mov_b32_e32 v7, 0
	v_add_co_u32_e32 v12, vcc, v2, v36
	s_mov_b32 s13, s12
	v_pk_mov_b32 v[16:17], s[14:15], s[14:15] op_sel:[0,1]
	v_addc_co_u32_e32 v13, vcc, 0, v3, vcc
	v_mov_b32_e32 v6, 33
	v_mov_b32_e32 v8, 1
	;; [unrolled: 1-line block ×3, first 2 shown]
	v_readfirstlane_b32 s16, v2
	v_readfirstlane_b32 s17, v3
	v_pk_mov_b32 v[14:15], s[12:13], s[12:13] op_sel:[0,1]
	s_nop 3
	global_store_dwordx4 v36, v[6:9], s[16:17]
	global_store_dwordx4 v36, v[14:17], s[16:17] offset:16
	global_store_dwordx4 v36, v[14:17], s[16:17] offset:32
	;; [unrolled: 1-line block ×3, first 2 shown]
	s_and_saveexec_b64 s[12:13], s[4:5]
	s_cbranch_execz .LBB22_16
; %bb.9:
	global_load_dwordx2 v[16:17], v7, s[10:11] offset:32 glc
	global_load_dwordx2 v[2:3], v7, s[10:11] offset:40
	v_mov_b32_e32 v14, s6
	v_mov_b32_e32 v15, s7
	s_waitcnt vmcnt(0)
	v_and_b32_e32 v2, s6, v2
	v_and_b32_e32 v3, s7, v3
	v_mul_lo_u32 v3, v3, 24
	v_mul_hi_u32 v6, v2, 24
	v_mul_lo_u32 v2, v2, 24
	v_add_u32_e32 v3, v6, v3
	v_add_co_u32_e32 v8, vcc, v0, v2
	v_addc_co_u32_e32 v9, vcc, v1, v3, vcc
	global_store_dwordx2 v[8:9], v[16:17], off
	buffer_wbl2
	s_waitcnt vmcnt(0)
	global_atomic_cmpswap_x2 v[2:3], v7, v[14:17], s[10:11] offset:32 glc
	s_waitcnt vmcnt(0)
	v_cmp_ne_u64_e32 vcc, v[2:3], v[16:17]
	s_and_saveexec_b64 s[14:15], vcc
	s_cbranch_execz .LBB22_12
; %bb.10:
	s_mov_b64 s[16:17], 0
.LBB22_11:                              ; =>This Inner Loop Header: Depth=1
	s_sleep 1
	global_store_dwordx2 v[8:9], v[2:3], off
	v_mov_b32_e32 v0, s6
	v_mov_b32_e32 v1, s7
	buffer_wbl2
	s_waitcnt vmcnt(0)
	global_atomic_cmpswap_x2 v[0:1], v7, v[0:3], s[10:11] offset:32 glc
	s_waitcnt vmcnt(0)
	v_cmp_eq_u64_e32 vcc, v[0:1], v[2:3]
	s_or_b64 s[16:17], vcc, s[16:17]
	v_pk_mov_b32 v[2:3], v[0:1], v[0:1] op_sel:[0,1]
	s_andn2_b64 exec, exec, s[16:17]
	s_cbranch_execnz .LBB22_11
.LBB22_12:
	s_or_b64 exec, exec, s[14:15]
	v_mov_b32_e32 v3, 0
	global_load_dwordx2 v[0:1], v3, s[10:11] offset:16
	s_mov_b64 s[14:15], exec
	v_mbcnt_lo_u32_b32 v2, s14, 0
	v_mbcnt_hi_u32_b32 v2, s15, v2
	v_cmp_eq_u32_e32 vcc, 0, v2
	s_and_saveexec_b64 s[16:17], vcc
	s_cbranch_execz .LBB22_14
; %bb.13:
	s_bcnt1_i32_b64 s14, s[14:15]
	v_mov_b32_e32 v2, s14
	buffer_wbl2
	s_waitcnt vmcnt(0)
	global_atomic_add_x2 v[0:1], v[2:3], off offset:8
.LBB22_14:
	s_or_b64 exec, exec, s[16:17]
	s_waitcnt vmcnt(0)
	global_load_dwordx2 v[2:3], v[0:1], off offset:16
	s_waitcnt vmcnt(0)
	v_cmp_eq_u64_e32 vcc, 0, v[2:3]
	s_cbranch_vccnz .LBB22_16
; %bb.15:
	global_load_dword v0, v[0:1], off offset:24
	v_mov_b32_e32 v1, 0
	buffer_wbl2
	s_waitcnt vmcnt(0)
	global_store_dwordx2 v[2:3], v[0:1], off
	v_and_b32_e32 v0, 0xffffff, v0
	v_readfirstlane_b32 m0, v0
	s_sendmsg sendmsg(MSG_INTERRUPT)
.LBB22_16:
	s_or_b64 exec, exec, s[12:13]
	s_branch .LBB22_20
.LBB22_17:                              ;   in Loop: Header=BB22_20 Depth=1
	s_or_b64 exec, exec, s[12:13]
	v_readfirstlane_b32 s12, v0
	s_cmp_eq_u32 s12, 0
	s_cbranch_scc1 .LBB22_19
; %bb.18:                               ;   in Loop: Header=BB22_20 Depth=1
	s_sleep 1
	s_cbranch_execnz .LBB22_20
	s_branch .LBB22_22
.LBB22_19:
	s_branch .LBB22_22
.LBB22_20:                              ; =>This Inner Loop Header: Depth=1
	v_mov_b32_e32 v0, 1
	s_and_saveexec_b64 s[12:13], s[4:5]
	s_cbranch_execz .LBB22_17
; %bb.21:                               ;   in Loop: Header=BB22_20 Depth=1
	global_load_dword v0, v[10:11], off offset:20 glc
	s_waitcnt vmcnt(0)
	buffer_invl2
	buffer_wbinvl1_vol
	v_and_b32_e32 v0, 1, v0
	s_branch .LBB22_17
.LBB22_22:
	global_load_dwordx2 v[6:7], v[12:13], off
	s_and_saveexec_b64 s[12:13], s[4:5]
	s_cbranch_execz .LBB22_25
; %bb.23:
	v_mov_b32_e32 v10, 0
	global_load_dwordx2 v[8:9], v10, s[10:11] offset:40
	global_load_dwordx2 v[12:13], v10, s[10:11] offset:24 glc
	global_load_dwordx2 v[14:15], v10, s[10:11]
	v_mov_b32_e32 v1, s7
	s_mov_b64 s[4:5], 0
	s_waitcnt vmcnt(2)
	v_add_co_u32_e32 v3, vcc, 1, v8
	v_addc_co_u32_e32 v11, vcc, 0, v9, vcc
	v_add_co_u32_e32 v0, vcc, s6, v3
	v_addc_co_u32_e32 v1, vcc, v11, v1, vcc
	v_cmp_eq_u64_e32 vcc, 0, v[0:1]
	v_cndmask_b32_e32 v1, v1, v11, vcc
	v_cndmask_b32_e32 v0, v0, v3, vcc
	v_and_b32_e32 v3, v1, v9
	v_and_b32_e32 v8, v0, v8
	v_mul_lo_u32 v3, v3, 24
	v_mul_hi_u32 v9, v8, 24
	v_mul_lo_u32 v8, v8, 24
	v_add_u32_e32 v3, v9, v3
	s_waitcnt vmcnt(0)
	v_add_co_u32_e32 v8, vcc, v14, v8
	v_addc_co_u32_e32 v9, vcc, v15, v3, vcc
	v_mov_b32_e32 v2, v12
	global_store_dwordx2 v[8:9], v[12:13], off
	v_mov_b32_e32 v3, v13
	buffer_wbl2
	s_waitcnt vmcnt(0)
	global_atomic_cmpswap_x2 v[2:3], v10, v[0:3], s[10:11] offset:24 glc
	s_waitcnt vmcnt(0)
	v_cmp_ne_u64_e32 vcc, v[2:3], v[12:13]
	s_and_b64 exec, exec, vcc
	s_cbranch_execz .LBB22_25
.LBB22_24:                              ; =>This Inner Loop Header: Depth=1
	s_sleep 1
	global_store_dwordx2 v[8:9], v[2:3], off
	buffer_wbl2
	s_waitcnt vmcnt(0)
	global_atomic_cmpswap_x2 v[12:13], v10, v[0:3], s[10:11] offset:24 glc
	s_waitcnt vmcnt(0)
	v_cmp_eq_u64_e32 vcc, v[12:13], v[2:3]
	s_or_b64 s[4:5], vcc, s[4:5]
	v_pk_mov_b32 v[2:3], v[12:13], v[12:13] op_sel:[0,1]
	s_andn2_b64 exec, exec, s[4:5]
	s_cbranch_execnz .LBB22_24
.LBB22_25:
	s_or_b64 exec, exec, s[12:13]
	v_lshrrev_b32_e64 v1, 6, s33
	s_mov_b64 s[4:5], 0
.LBB22_26:                              ; =>This Inner Loop Header: Depth=1
	buffer_load_ubyte v2, v1, s[0:3], 0 offen
	v_add_u32_e32 v0, 1, v1
	v_mov_b32_e32 v1, v0
	s_waitcnt vmcnt(0)
	v_cmp_eq_u16_e32 vcc, 0, v2
	s_or_b64 s[4:5], vcc, s[4:5]
	s_andn2_b64 exec, exec, s[4:5]
	s_cbranch_execnz .LBB22_26
; %bb.27:
	s_or_b64 exec, exec, s[4:5]
	v_lshrrev_b32_e64 v31, 6, s33
	v_cmp_ne_u32_e32 vcc, -1, v31
	s_cbranch_vccz .LBB22_112
; %bb.28:
	v_lshrrev_b32_e64 v1, 6, s33
	v_subrev_u32_e32 v28, v1, v0
	v_ashrrev_i32_e32 v29, 31, v28
	v_and_b32_e32 v30, 2, v6
	v_mov_b32_e32 v33, 0
	v_and_b32_e32 v0, -3, v6
	v_mov_b32_e32 v1, v7
	s_mov_b64 s[12:13], 0
	s_mov_b32 s20, 0
	s_movk_i32 s21, 0xff1f
	v_mov_b32_e32 v10, 2
	v_mov_b32_e32 v11, 1
	s_branch .LBB22_30
.LBB22_29:                              ;   in Loop: Header=BB22_30 Depth=1
	s_or_b64 exec, exec, s[6:7]
	v_sub_co_u32_e32 v28, vcc, v28, v38
	v_subb_co_u32_e32 v29, vcc, v29, v39, vcc
	v_cmp_eq_u64_e32 vcc, 0, v[28:29]
	s_or_b64 s[12:13], vcc, s[12:13]
	v_add_u32_e32 v31, v31, v38
	s_andn2_b64 exec, exec, s[12:13]
	s_cbranch_execz .LBB22_113
.LBB22_30:                              ; =>This Loop Header: Depth=1
                                        ;     Child Loop BB22_33 Depth 2
                                        ;     Child Loop BB22_41 Depth 2
	;; [unrolled: 1-line block ×11, first 2 shown]
	v_cmp_gt_u64_e32 vcc, 56, v[28:29]
	v_cndmask_b32_e32 v38, 56, v28, vcc
	v_cmp_gt_u64_e64 s[4:5], 8, v[28:29]
                                        ; implicit-def: $vgpr2_vgpr3
                                        ; implicit-def: $sgpr14
	s_and_saveexec_b64 s[6:7], s[4:5]
	s_xor_b64 s[6:7], exec, s[6:7]
	s_cbranch_execz .LBB22_36
; %bb.31:                               ;   in Loop: Header=BB22_30 Depth=1
	s_mov_b64 s[16:17], 0
	v_cmp_ne_u64_e64 s[4:5], 0, v[28:29]
	s_waitcnt vmcnt(0)
	v_pk_mov_b32 v[2:3], 0, 0
	s_and_saveexec_b64 s[14:15], s[4:5]
	s_cbranch_execz .LBB22_35
; %bb.32:                               ;   in Loop: Header=BB22_30 Depth=1
	s_mov_b32 s22, 0
	v_pk_mov_b32 v[2:3], 0, 0
	s_mov_b64 s[18:19], 0
.LBB22_33:                              ;   Parent Loop BB22_30 Depth=1
                                        ; =>  This Inner Loop Header: Depth=2
	v_add_u32_e32 v8, s22, v31
	buffer_load_ubyte v8, v8, s[0:3], 0 offen
	v_mov_b32_e32 v9, s20
	s_add_i32 s22, s22, 1
	v_cmp_eq_u32_e64 s[4:5], s22, v38
	s_waitcnt vmcnt(0)
	v_and_b32_e32 v8, 0xffff, v8
	v_lshlrev_b64 v[8:9], s18, v[8:9]
	s_add_u32 s18, s18, 8
	s_addc_u32 s19, s19, 0
	v_or_b32_e32 v3, v9, v3
	s_or_b64 s[16:17], s[4:5], s[16:17]
	v_or_b32_e32 v2, v8, v2
	s_andn2_b64 exec, exec, s[16:17]
	s_cbranch_execnz .LBB22_33
; %bb.34:                               ;   in Loop: Header=BB22_30 Depth=1
	s_or_b64 exec, exec, s[16:17]
.LBB22_35:                              ;   in Loop: Header=BB22_30 Depth=1
	s_or_b64 exec, exec, s[14:15]
	s_mov_b32 s14, 0
.LBB22_36:                              ;   in Loop: Header=BB22_30 Depth=1
	s_or_saveexec_b64 s[4:5], s[6:7]
	v_mov_b32_e32 v9, s14
	v_mov_b32_e32 v8, v31
	s_xor_b64 exec, exec, s[4:5]
	s_cbranch_execz .LBB22_38
; %bb.37:                               ;   in Loop: Header=BB22_30 Depth=1
	buffer_load_dword v2, v31, s[0:3], 0 offen offset:4
	buffer_load_dword v3, v31, s[0:3], 0 offen
	v_add_u32_e32 v9, -8, v38
	s_waitcnt vmcnt(1)
	v_and_b32_e32 v8, 0xff, v2
	v_and_b32_e32 v12, 0xff00, v2
	s_waitcnt vmcnt(0)
	v_or3_b32 v3, v3, 0, 0
	v_and_b32_e32 v13, 0xff0000, v2
	v_and_b32_e32 v14, 0xff000000, v2
	v_or3_b32 v8, 0, v8, v12
	v_or3_b32 v2, v3, 0, 0
	;; [unrolled: 1-line block ×3, first 2 shown]
	v_add_u32_e32 v8, 8, v31
.LBB22_38:                              ;   in Loop: Header=BB22_30 Depth=1
	s_or_b64 exec, exec, s[4:5]
	v_cmp_gt_u32_e64 s[4:5], 8, v9
                                        ; implicit-def: $vgpr12_vgpr13
                                        ; implicit-def: $sgpr14
	s_and_saveexec_b64 s[6:7], s[4:5]
	s_xor_b64 s[6:7], exec, s[6:7]
	s_cbranch_execz .LBB22_44
; %bb.39:                               ;   in Loop: Header=BB22_30 Depth=1
	v_cmp_ne_u32_e64 s[4:5], 0, v9
	v_pk_mov_b32 v[12:13], 0, 0
	s_and_saveexec_b64 s[14:15], s[4:5]
	s_cbranch_execz .LBB22_43
; %bb.40:                               ;   in Loop: Header=BB22_30 Depth=1
	s_mov_b32 s22, 0
	s_mov_b64 s[16:17], 0
	v_pk_mov_b32 v[12:13], 0, 0
	s_mov_b64 s[18:19], 0
.LBB22_41:                              ;   Parent Loop BB22_30 Depth=1
                                        ; =>  This Inner Loop Header: Depth=2
	v_add_u32_e32 v14, s22, v8
	buffer_load_ubyte v14, v14, s[0:3], 0 offen
	v_mov_b32_e32 v15, s20
	s_add_i32 s22, s22, 1
	v_cmp_eq_u32_e64 s[4:5], s22, v9
	s_waitcnt vmcnt(0)
	v_and_b32_e32 v14, 0xffff, v14
	v_lshlrev_b64 v[14:15], s18, v[14:15]
	s_add_u32 s18, s18, 8
	s_addc_u32 s19, s19, 0
	v_or_b32_e32 v13, v15, v13
	s_or_b64 s[16:17], s[4:5], s[16:17]
	v_or_b32_e32 v12, v14, v12
	s_andn2_b64 exec, exec, s[16:17]
	s_cbranch_execnz .LBB22_41
; %bb.42:                               ;   in Loop: Header=BB22_30 Depth=1
	s_or_b64 exec, exec, s[16:17]
.LBB22_43:                              ;   in Loop: Header=BB22_30 Depth=1
	s_or_b64 exec, exec, s[14:15]
	s_mov_b32 s14, 0
                                        ; implicit-def: $vgpr9
.LBB22_44:                              ;   in Loop: Header=BB22_30 Depth=1
	s_or_saveexec_b64 s[4:5], s[6:7]
	v_mov_b32_e32 v16, s14
	s_xor_b64 exec, exec, s[4:5]
	s_cbranch_execz .LBB22_46
; %bb.45:                               ;   in Loop: Header=BB22_30 Depth=1
	buffer_load_dword v12, v8, s[0:3], 0 offen offset:4
	buffer_load_dword v13, v8, s[0:3], 0 offen
	v_add_u32_e32 v16, -8, v9
	v_add_u32_e32 v8, 8, v8
	s_waitcnt vmcnt(1)
	v_and_b32_e32 v9, 0xff, v12
	v_and_b32_e32 v14, 0xff00, v12
	s_waitcnt vmcnt(0)
	v_or3_b32 v13, v13, 0, 0
	v_and_b32_e32 v15, 0xff0000, v12
	v_and_b32_e32 v17, 0xff000000, v12
	v_or3_b32 v9, 0, v9, v14
	v_or3_b32 v12, v13, 0, 0
	;; [unrolled: 1-line block ×3, first 2 shown]
.LBB22_46:                              ;   in Loop: Header=BB22_30 Depth=1
	s_or_b64 exec, exec, s[4:5]
	v_cmp_gt_u32_e64 s[4:5], 8, v16
                                        ; implicit-def: $sgpr14
	s_and_saveexec_b64 s[6:7], s[4:5]
	s_xor_b64 s[6:7], exec, s[6:7]
	s_cbranch_execz .LBB22_52
; %bb.47:                               ;   in Loop: Header=BB22_30 Depth=1
	v_cmp_ne_u32_e64 s[4:5], 0, v16
	v_pk_mov_b32 v[14:15], 0, 0
	s_and_saveexec_b64 s[14:15], s[4:5]
	s_cbranch_execz .LBB22_51
; %bb.48:                               ;   in Loop: Header=BB22_30 Depth=1
	s_mov_b32 s22, 0
	s_mov_b64 s[16:17], 0
	v_pk_mov_b32 v[14:15], 0, 0
	s_mov_b64 s[18:19], 0
.LBB22_49:                              ;   Parent Loop BB22_30 Depth=1
                                        ; =>  This Inner Loop Header: Depth=2
	v_add_u32_e32 v9, s22, v8
	buffer_load_ubyte v9, v9, s[0:3], 0 offen
	v_mov_b32_e32 v19, s20
	s_add_i32 s22, s22, 1
	v_cmp_eq_u32_e64 s[4:5], s22, v16
	s_waitcnt vmcnt(0)
	v_and_b32_e32 v18, 0xffff, v9
	v_lshlrev_b64 v[18:19], s18, v[18:19]
	s_add_u32 s18, s18, 8
	s_addc_u32 s19, s19, 0
	v_or_b32_e32 v15, v19, v15
	s_or_b64 s[16:17], s[4:5], s[16:17]
	v_or_b32_e32 v14, v18, v14
	s_andn2_b64 exec, exec, s[16:17]
	s_cbranch_execnz .LBB22_49
; %bb.50:                               ;   in Loop: Header=BB22_30 Depth=1
	s_or_b64 exec, exec, s[16:17]
.LBB22_51:                              ;   in Loop: Header=BB22_30 Depth=1
	s_or_b64 exec, exec, s[14:15]
	s_mov_b32 s14, 0
                                        ; implicit-def: $vgpr16
.LBB22_52:                              ;   in Loop: Header=BB22_30 Depth=1
	s_or_saveexec_b64 s[4:5], s[6:7]
	v_mov_b32_e32 v9, s14
	s_xor_b64 exec, exec, s[4:5]
	s_cbranch_execz .LBB22_54
; %bb.53:                               ;   in Loop: Header=BB22_30 Depth=1
	buffer_load_dword v14, v8, s[0:3], 0 offen offset:4
	buffer_load_dword v15, v8, s[0:3], 0 offen
	v_add_u32_e32 v9, -8, v16
	v_add_u32_e32 v8, 8, v8
	s_waitcnt vmcnt(1)
	v_and_b32_e32 v16, 0xff, v14
	v_and_b32_e32 v17, 0xff00, v14
	s_waitcnt vmcnt(0)
	v_or3_b32 v15, v15, 0, 0
	v_and_b32_e32 v18, 0xff0000, v14
	v_and_b32_e32 v19, 0xff000000, v14
	v_or3_b32 v16, 0, v16, v17
	v_or3_b32 v14, v15, 0, 0
	;; [unrolled: 1-line block ×3, first 2 shown]
.LBB22_54:                              ;   in Loop: Header=BB22_30 Depth=1
	s_or_b64 exec, exec, s[4:5]
	v_cmp_gt_u32_e64 s[4:5], 8, v9
                                        ; implicit-def: $vgpr16_vgpr17
                                        ; implicit-def: $sgpr14
	s_and_saveexec_b64 s[6:7], s[4:5]
	s_xor_b64 s[6:7], exec, s[6:7]
	s_cbranch_execz .LBB22_60
; %bb.55:                               ;   in Loop: Header=BB22_30 Depth=1
	v_cmp_ne_u32_e64 s[4:5], 0, v9
	v_pk_mov_b32 v[16:17], 0, 0
	s_and_saveexec_b64 s[14:15], s[4:5]
	s_cbranch_execz .LBB22_59
; %bb.56:                               ;   in Loop: Header=BB22_30 Depth=1
	s_mov_b32 s22, 0
	s_mov_b64 s[16:17], 0
	v_pk_mov_b32 v[16:17], 0, 0
	s_mov_b64 s[18:19], 0
.LBB22_57:                              ;   Parent Loop BB22_30 Depth=1
                                        ; =>  This Inner Loop Header: Depth=2
	v_add_u32_e32 v18, s22, v8
	buffer_load_ubyte v18, v18, s[0:3], 0 offen
	v_mov_b32_e32 v19, s20
	s_add_i32 s22, s22, 1
	v_cmp_eq_u32_e64 s[4:5], s22, v9
	s_waitcnt vmcnt(0)
	v_and_b32_e32 v18, 0xffff, v18
	v_lshlrev_b64 v[18:19], s18, v[18:19]
	s_add_u32 s18, s18, 8
	s_addc_u32 s19, s19, 0
	v_or_b32_e32 v17, v19, v17
	s_or_b64 s[16:17], s[4:5], s[16:17]
	v_or_b32_e32 v16, v18, v16
	s_andn2_b64 exec, exec, s[16:17]
	s_cbranch_execnz .LBB22_57
; %bb.58:                               ;   in Loop: Header=BB22_30 Depth=1
	s_or_b64 exec, exec, s[16:17]
.LBB22_59:                              ;   in Loop: Header=BB22_30 Depth=1
	s_or_b64 exec, exec, s[14:15]
	s_mov_b32 s14, 0
                                        ; implicit-def: $vgpr9
.LBB22_60:                              ;   in Loop: Header=BB22_30 Depth=1
	s_or_saveexec_b64 s[4:5], s[6:7]
	v_mov_b32_e32 v20, s14
	s_xor_b64 exec, exec, s[4:5]
	s_cbranch_execz .LBB22_62
; %bb.61:                               ;   in Loop: Header=BB22_30 Depth=1
	buffer_load_dword v16, v8, s[0:3], 0 offen offset:4
	buffer_load_dword v17, v8, s[0:3], 0 offen
	v_add_u32_e32 v20, -8, v9
	v_add_u32_e32 v8, 8, v8
	s_waitcnt vmcnt(1)
	v_and_b32_e32 v9, 0xff, v16
	v_and_b32_e32 v18, 0xff00, v16
	s_waitcnt vmcnt(0)
	v_or3_b32 v17, v17, 0, 0
	v_and_b32_e32 v19, 0xff0000, v16
	v_and_b32_e32 v21, 0xff000000, v16
	v_or3_b32 v9, 0, v9, v18
	v_or3_b32 v16, v17, 0, 0
	;; [unrolled: 1-line block ×3, first 2 shown]
.LBB22_62:                              ;   in Loop: Header=BB22_30 Depth=1
	s_or_b64 exec, exec, s[4:5]
	v_cmp_gt_u32_e64 s[4:5], 8, v20
                                        ; implicit-def: $sgpr14
	s_and_saveexec_b64 s[6:7], s[4:5]
	s_xor_b64 s[6:7], exec, s[6:7]
	s_cbranch_execz .LBB22_68
; %bb.63:                               ;   in Loop: Header=BB22_30 Depth=1
	v_cmp_ne_u32_e64 s[4:5], 0, v20
	v_pk_mov_b32 v[18:19], 0, 0
	s_and_saveexec_b64 s[14:15], s[4:5]
	s_cbranch_execz .LBB22_67
; %bb.64:                               ;   in Loop: Header=BB22_30 Depth=1
	s_mov_b32 s22, 0
	s_mov_b64 s[16:17], 0
	v_pk_mov_b32 v[18:19], 0, 0
	s_mov_b64 s[18:19], 0
.LBB22_65:                              ;   Parent Loop BB22_30 Depth=1
                                        ; =>  This Inner Loop Header: Depth=2
	v_add_u32_e32 v9, s22, v8
	buffer_load_ubyte v9, v9, s[0:3], 0 offen
	v_mov_b32_e32 v23, s20
	s_add_i32 s22, s22, 1
	v_cmp_eq_u32_e64 s[4:5], s22, v20
	s_waitcnt vmcnt(0)
	v_and_b32_e32 v22, 0xffff, v9
	v_lshlrev_b64 v[22:23], s18, v[22:23]
	s_add_u32 s18, s18, 8
	s_addc_u32 s19, s19, 0
	v_or_b32_e32 v19, v23, v19
	s_or_b64 s[16:17], s[4:5], s[16:17]
	v_or_b32_e32 v18, v22, v18
	s_andn2_b64 exec, exec, s[16:17]
	s_cbranch_execnz .LBB22_65
; %bb.66:                               ;   in Loop: Header=BB22_30 Depth=1
	s_or_b64 exec, exec, s[16:17]
.LBB22_67:                              ;   in Loop: Header=BB22_30 Depth=1
	s_or_b64 exec, exec, s[14:15]
	s_mov_b32 s14, 0
                                        ; implicit-def: $vgpr20
.LBB22_68:                              ;   in Loop: Header=BB22_30 Depth=1
	s_or_saveexec_b64 s[4:5], s[6:7]
	v_mov_b32_e32 v9, s14
	s_xor_b64 exec, exec, s[4:5]
	s_cbranch_execz .LBB22_70
; %bb.69:                               ;   in Loop: Header=BB22_30 Depth=1
	buffer_load_dword v18, v8, s[0:3], 0 offen offset:4
	buffer_load_dword v19, v8, s[0:3], 0 offen
	v_add_u32_e32 v9, -8, v20
	v_add_u32_e32 v8, 8, v8
	s_waitcnt vmcnt(1)
	v_and_b32_e32 v20, 0xff, v18
	v_and_b32_e32 v21, 0xff00, v18
	s_waitcnt vmcnt(0)
	v_or3_b32 v19, v19, 0, 0
	v_and_b32_e32 v22, 0xff0000, v18
	v_and_b32_e32 v23, 0xff000000, v18
	v_or3_b32 v20, 0, v20, v21
	v_or3_b32 v18, v19, 0, 0
	;; [unrolled: 1-line block ×3, first 2 shown]
.LBB22_70:                              ;   in Loop: Header=BB22_30 Depth=1
	s_or_b64 exec, exec, s[4:5]
	v_cmp_gt_u32_e64 s[4:5], 8, v9
                                        ; implicit-def: $vgpr20_vgpr21
                                        ; implicit-def: $sgpr14
	s_and_saveexec_b64 s[6:7], s[4:5]
	s_xor_b64 s[6:7], exec, s[6:7]
	s_cbranch_execz .LBB22_76
; %bb.71:                               ;   in Loop: Header=BB22_30 Depth=1
	v_cmp_ne_u32_e64 s[4:5], 0, v9
	v_pk_mov_b32 v[20:21], 0, 0
	s_and_saveexec_b64 s[14:15], s[4:5]
	s_cbranch_execz .LBB22_75
; %bb.72:                               ;   in Loop: Header=BB22_30 Depth=1
	s_mov_b32 s22, 0
	s_mov_b64 s[16:17], 0
	v_pk_mov_b32 v[20:21], 0, 0
	s_mov_b64 s[18:19], 0
.LBB22_73:                              ;   Parent Loop BB22_30 Depth=1
                                        ; =>  This Inner Loop Header: Depth=2
	v_add_u32_e32 v22, s22, v8
	buffer_load_ubyte v22, v22, s[0:3], 0 offen
	v_mov_b32_e32 v23, s20
	s_add_i32 s22, s22, 1
	v_cmp_eq_u32_e64 s[4:5], s22, v9
	s_waitcnt vmcnt(0)
	v_and_b32_e32 v22, 0xffff, v22
	v_lshlrev_b64 v[22:23], s18, v[22:23]
	s_add_u32 s18, s18, 8
	s_addc_u32 s19, s19, 0
	v_or_b32_e32 v21, v23, v21
	s_or_b64 s[16:17], s[4:5], s[16:17]
	v_or_b32_e32 v20, v22, v20
	s_andn2_b64 exec, exec, s[16:17]
	s_cbranch_execnz .LBB22_73
; %bb.74:                               ;   in Loop: Header=BB22_30 Depth=1
	s_or_b64 exec, exec, s[16:17]
.LBB22_75:                              ;   in Loop: Header=BB22_30 Depth=1
	s_or_b64 exec, exec, s[14:15]
	s_mov_b32 s14, 0
                                        ; implicit-def: $vgpr9
.LBB22_76:                              ;   in Loop: Header=BB22_30 Depth=1
	s_or_saveexec_b64 s[4:5], s[6:7]
	v_mov_b32_e32 v24, s14
	s_xor_b64 exec, exec, s[4:5]
	s_cbranch_execz .LBB22_78
; %bb.77:                               ;   in Loop: Header=BB22_30 Depth=1
	buffer_load_dword v20, v8, s[0:3], 0 offen offset:4
	buffer_load_dword v21, v8, s[0:3], 0 offen
	v_add_u32_e32 v24, -8, v9
	v_add_u32_e32 v8, 8, v8
	s_waitcnt vmcnt(1)
	v_and_b32_e32 v9, 0xff, v20
	v_and_b32_e32 v22, 0xff00, v20
	s_waitcnt vmcnt(0)
	v_or3_b32 v21, v21, 0, 0
	v_and_b32_e32 v23, 0xff0000, v20
	v_and_b32_e32 v25, 0xff000000, v20
	v_or3_b32 v9, 0, v9, v22
	v_or3_b32 v20, v21, 0, 0
	;; [unrolled: 1-line block ×3, first 2 shown]
.LBB22_78:                              ;   in Loop: Header=BB22_30 Depth=1
	s_or_b64 exec, exec, s[4:5]
	v_cmp_gt_u32_e64 s[4:5], 8, v24
	s_and_saveexec_b64 s[6:7], s[4:5]
	s_xor_b64 s[6:7], exec, s[6:7]
	s_cbranch_execz .LBB22_84
; %bb.79:                               ;   in Loop: Header=BB22_30 Depth=1
	v_cmp_ne_u32_e64 s[4:5], 0, v24
	v_pk_mov_b32 v[22:23], 0, 0
	s_and_saveexec_b64 s[14:15], s[4:5]
	s_cbranch_execz .LBB22_83
; %bb.80:                               ;   in Loop: Header=BB22_30 Depth=1
	s_mov_b64 s[16:17], 0
	v_pk_mov_b32 v[22:23], 0, 0
	s_mov_b64 s[18:19], 0
.LBB22_81:                              ;   Parent Loop BB22_30 Depth=1
                                        ; =>  This Inner Loop Header: Depth=2
	buffer_load_ubyte v9, v8, s[0:3], 0 offen
	v_mov_b32_e32 v27, s20
	v_add_u32_e32 v24, -1, v24
	v_cmp_eq_u32_e64 s[4:5], 0, v24
	v_add_u32_e32 v8, 1, v8
	s_waitcnt vmcnt(0)
	v_and_b32_e32 v26, 0xffff, v9
	v_lshlrev_b64 v[26:27], s18, v[26:27]
	s_add_u32 s18, s18, 8
	s_addc_u32 s19, s19, 0
	v_or_b32_e32 v23, v27, v23
	s_or_b64 s[16:17], s[4:5], s[16:17]
	v_or_b32_e32 v22, v26, v22
	s_andn2_b64 exec, exec, s[16:17]
	s_cbranch_execnz .LBB22_81
; %bb.82:                               ;   in Loop: Header=BB22_30 Depth=1
	s_or_b64 exec, exec, s[16:17]
.LBB22_83:                              ;   in Loop: Header=BB22_30 Depth=1
	s_or_b64 exec, exec, s[14:15]
                                        ; implicit-def: $vgpr8
.LBB22_84:                              ;   in Loop: Header=BB22_30 Depth=1
	s_andn2_saveexec_b64 s[4:5], s[6:7]
	s_cbranch_execz .LBB22_86
; %bb.85:                               ;   in Loop: Header=BB22_30 Depth=1
	buffer_load_dword v9, v8, s[0:3], 0 offen offset:4
	buffer_load_dword v22, v8, s[0:3], 0 offen
	s_waitcnt vmcnt(1)
	v_and_b32_e32 v8, 0xff, v9
	v_and_b32_e32 v23, 0xff00, v9
	s_waitcnt vmcnt(0)
	v_or3_b32 v22, v22, 0, 0
	v_and_b32_e32 v24, 0xff0000, v9
	v_and_b32_e32 v9, 0xff000000, v9
	v_or3_b32 v8, 0, v8, v23
	v_or3_b32 v23, v8, v24, v9
	;; [unrolled: 1-line block ×3, first 2 shown]
.LBB22_86:                              ;   in Loop: Header=BB22_30 Depth=1
	s_or_b64 exec, exec, s[4:5]
	v_readfirstlane_b32 s4, v37
	v_cmp_eq_u32_e64 s[4:5], s4, v37
	v_pk_mov_b32 v[8:9], 0, 0
	s_and_saveexec_b64 s[14:15], s[4:5]
	s_cbranch_execz .LBB22_92
; %bb.87:                               ;   in Loop: Header=BB22_30 Depth=1
	global_load_dwordx2 v[26:27], v33, s[10:11] offset:24 glc
	s_waitcnt vmcnt(0)
	buffer_invl2
	buffer_wbinvl1_vol
	global_load_dwordx2 v[8:9], v33, s[10:11] offset:40
	global_load_dwordx2 v[24:25], v33, s[10:11]
	s_waitcnt vmcnt(1)
	v_and_b32_e32 v8, v8, v26
	v_and_b32_e32 v9, v9, v27
	v_mul_lo_u32 v9, v9, 24
	v_mul_hi_u32 v32, v8, 24
	v_mul_lo_u32 v8, v8, 24
	v_add_u32_e32 v9, v32, v9
	s_waitcnt vmcnt(0)
	v_add_co_u32_e64 v8, s[6:7], v24, v8
	v_addc_co_u32_e64 v9, s[6:7], v25, v9, s[6:7]
	global_load_dwordx2 v[24:25], v[8:9], off glc
	s_waitcnt vmcnt(0)
	global_atomic_cmpswap_x2 v[8:9], v33, v[24:27], s[10:11] offset:24 glc
	s_waitcnt vmcnt(0)
	buffer_invl2
	buffer_wbinvl1_vol
	v_cmp_ne_u64_e64 s[6:7], v[8:9], v[26:27]
	s_and_saveexec_b64 s[16:17], s[6:7]
	s_cbranch_execz .LBB22_91
; %bb.88:                               ;   in Loop: Header=BB22_30 Depth=1
	s_mov_b64 s[18:19], 0
.LBB22_89:                              ;   Parent Loop BB22_30 Depth=1
                                        ; =>  This Inner Loop Header: Depth=2
	s_sleep 1
	global_load_dwordx2 v[24:25], v33, s[10:11] offset:40
	global_load_dwordx2 v[34:35], v33, s[10:11]
	v_pk_mov_b32 v[26:27], v[8:9], v[8:9] op_sel:[0,1]
	s_waitcnt vmcnt(1)
	v_and_b32_e32 v8, v24, v26
	s_waitcnt vmcnt(0)
	v_mad_u64_u32 v[8:9], s[6:7], v8, 24, v[34:35]
	v_and_b32_e32 v25, v25, v27
	v_mov_b32_e32 v24, v9
	v_mad_u64_u32 v[24:25], s[6:7], v25, 24, v[24:25]
	v_mov_b32_e32 v9, v24
	global_load_dwordx2 v[24:25], v[8:9], off glc
	s_waitcnt vmcnt(0)
	global_atomic_cmpswap_x2 v[8:9], v33, v[24:27], s[10:11] offset:24 glc
	s_waitcnt vmcnt(0)
	buffer_invl2
	buffer_wbinvl1_vol
	v_cmp_eq_u64_e64 s[6:7], v[8:9], v[26:27]
	s_or_b64 s[18:19], s[6:7], s[18:19]
	s_andn2_b64 exec, exec, s[18:19]
	s_cbranch_execnz .LBB22_89
; %bb.90:                               ;   in Loop: Header=BB22_30 Depth=1
	s_or_b64 exec, exec, s[18:19]
.LBB22_91:                              ;   in Loop: Header=BB22_30 Depth=1
	s_or_b64 exec, exec, s[16:17]
.LBB22_92:                              ;   in Loop: Header=BB22_30 Depth=1
	s_or_b64 exec, exec, s[14:15]
	global_load_dwordx2 v[34:35], v33, s[10:11] offset:40
	global_load_dwordx4 v[24:27], v33, s[10:11]
	v_readfirstlane_b32 s14, v8
	v_readfirstlane_b32 s15, v9
	s_mov_b64 s[16:17], exec
	s_waitcnt vmcnt(1)
	v_readfirstlane_b32 s6, v34
	v_readfirstlane_b32 s7, v35
	s_and_b64 s[18:19], s[14:15], s[6:7]
	s_mul_i32 s6, s19, 24
	s_mul_hi_u32 s7, s18, 24
	s_mul_i32 s22, s18, 24
	s_add_i32 s6, s7, s6
	v_mov_b32_e32 v8, s6
	s_waitcnt vmcnt(0)
	v_add_co_u32_e64 v34, s[6:7], s22, v24
	v_addc_co_u32_e64 v35, s[6:7], v25, v8, s[6:7]
	s_and_saveexec_b64 s[6:7], s[4:5]
	s_cbranch_execz .LBB22_94
; %bb.93:                               ;   in Loop: Header=BB22_30 Depth=1
	v_pk_mov_b32 v[8:9], s[16:17], s[16:17] op_sel:[0,1]
	global_store_dwordx4 v[34:35], v[8:11], off offset:8
.LBB22_94:                              ;   in Loop: Header=BB22_30 Depth=1
	s_or_b64 exec, exec, s[6:7]
	s_lshl_b64 s[6:7], s[18:19], 12
	v_cndmask_b32_e32 v39, 0, v29, vcc
	v_mov_b32_e32 v9, s7
	v_add_co_u32_e32 v8, vcc, s6, v26
	v_addc_co_u32_e32 v9, vcc, v27, v9, vcc
	v_or_b32_e32 v26, 0, v1
	v_cmp_lt_u64_e32 vcc, 56, v[28:29]
	v_or_b32_e32 v27, v0, v30
	v_cndmask_b32_e32 v1, v26, v1, vcc
	v_lshl_add_u32 v26, v38, 2, 28
	v_cndmask_b32_e32 v0, v27, v0, vcc
	v_and_b32_e32 v26, 0x1e0, v26
	v_and_or_b32 v0, v0, s21, v26
	v_readfirstlane_b32 s6, v8
	v_readfirstlane_b32 s7, v9
	s_nop 4
	global_store_dwordx4 v36, v[0:3], s[6:7]
	global_store_dwordx4 v36, v[12:15], s[6:7] offset:16
	global_store_dwordx4 v36, v[16:19], s[6:7] offset:32
	;; [unrolled: 1-line block ×3, first 2 shown]
	s_and_saveexec_b64 s[6:7], s[4:5]
	s_cbranch_execz .LBB22_102
; %bb.95:                               ;   in Loop: Header=BB22_30 Depth=1
	global_load_dwordx2 v[16:17], v33, s[10:11] offset:32 glc
	global_load_dwordx2 v[0:1], v33, s[10:11] offset:40
	v_mov_b32_e32 v14, s14
	v_mov_b32_e32 v15, s15
	s_waitcnt vmcnt(0)
	v_readfirstlane_b32 s16, v0
	v_readfirstlane_b32 s17, v1
	s_and_b64 s[16:17], s[16:17], s[14:15]
	s_mul_i32 s17, s17, 24
	s_mul_hi_u32 s18, s16, 24
	s_mul_i32 s16, s16, 24
	s_add_i32 s17, s18, s17
	v_mov_b32_e32 v0, s17
	v_add_co_u32_e32 v12, vcc, s16, v24
	v_addc_co_u32_e32 v13, vcc, v25, v0, vcc
	global_store_dwordx2 v[12:13], v[16:17], off
	buffer_wbl2
	s_waitcnt vmcnt(0)
	global_atomic_cmpswap_x2 v[2:3], v33, v[14:17], s[10:11] offset:32 glc
	s_waitcnt vmcnt(0)
	v_cmp_ne_u64_e32 vcc, v[2:3], v[16:17]
	s_and_saveexec_b64 s[16:17], vcc
	s_cbranch_execz .LBB22_98
; %bb.96:                               ;   in Loop: Header=BB22_30 Depth=1
	s_mov_b64 s[18:19], 0
.LBB22_97:                              ;   Parent Loop BB22_30 Depth=1
                                        ; =>  This Inner Loop Header: Depth=2
	s_sleep 1
	global_store_dwordx2 v[12:13], v[2:3], off
	v_mov_b32_e32 v0, s14
	v_mov_b32_e32 v1, s15
	buffer_wbl2
	s_waitcnt vmcnt(0)
	global_atomic_cmpswap_x2 v[0:1], v33, v[0:3], s[10:11] offset:32 glc
	s_waitcnt vmcnt(0)
	v_cmp_eq_u64_e32 vcc, v[0:1], v[2:3]
	s_or_b64 s[18:19], vcc, s[18:19]
	v_pk_mov_b32 v[2:3], v[0:1], v[0:1] op_sel:[0,1]
	s_andn2_b64 exec, exec, s[18:19]
	s_cbranch_execnz .LBB22_97
.LBB22_98:                              ;   in Loop: Header=BB22_30 Depth=1
	s_or_b64 exec, exec, s[16:17]
	global_load_dwordx2 v[0:1], v33, s[10:11] offset:16
	s_mov_b64 s[18:19], exec
	v_mbcnt_lo_u32_b32 v2, s18, 0
	v_mbcnt_hi_u32_b32 v2, s19, v2
	v_cmp_eq_u32_e32 vcc, 0, v2
	s_and_saveexec_b64 s[16:17], vcc
	s_cbranch_execz .LBB22_100
; %bb.99:                               ;   in Loop: Header=BB22_30 Depth=1
	s_bcnt1_i32_b64 s18, s[18:19]
	v_mov_b32_e32 v32, s18
	buffer_wbl2
	s_waitcnt vmcnt(0)
	global_atomic_add_x2 v[0:1], v[32:33], off offset:8
.LBB22_100:                             ;   in Loop: Header=BB22_30 Depth=1
	s_or_b64 exec, exec, s[16:17]
	s_waitcnt vmcnt(0)
	global_load_dwordx2 v[2:3], v[0:1], off offset:16
	s_waitcnt vmcnt(0)
	v_cmp_eq_u64_e32 vcc, 0, v[2:3]
	s_cbranch_vccnz .LBB22_102
; %bb.101:                              ;   in Loop: Header=BB22_30 Depth=1
	global_load_dword v32, v[0:1], off offset:24
	s_waitcnt vmcnt(0)
	v_and_b32_e32 v0, 0xffffff, v32
	v_readfirstlane_b32 m0, v0
	buffer_wbl2
	global_store_dwordx2 v[2:3], v[32:33], off
	s_sendmsg sendmsg(MSG_INTERRUPT)
.LBB22_102:                             ;   in Loop: Header=BB22_30 Depth=1
	s_or_b64 exec, exec, s[6:7]
	v_add_co_u32_e32 v0, vcc, v8, v36
	v_addc_co_u32_e32 v1, vcc, 0, v9, vcc
	s_branch .LBB22_106
.LBB22_103:                             ;   in Loop: Header=BB22_106 Depth=2
	s_or_b64 exec, exec, s[6:7]
	v_readfirstlane_b32 s6, v2
	s_cmp_eq_u32 s6, 0
	s_cbranch_scc1 .LBB22_105
; %bb.104:                              ;   in Loop: Header=BB22_106 Depth=2
	s_sleep 1
	s_cbranch_execnz .LBB22_106
	s_branch .LBB22_108
.LBB22_105:                             ;   in Loop: Header=BB22_30 Depth=1
	s_branch .LBB22_108
.LBB22_106:                             ;   Parent Loop BB22_30 Depth=1
                                        ; =>  This Inner Loop Header: Depth=2
	v_mov_b32_e32 v2, 1
	s_and_saveexec_b64 s[6:7], s[4:5]
	s_cbranch_execz .LBB22_103
; %bb.107:                              ;   in Loop: Header=BB22_106 Depth=2
	global_load_dword v2, v[34:35], off offset:20 glc
	s_waitcnt vmcnt(0)
	buffer_invl2
	buffer_wbinvl1_vol
	v_and_b32_e32 v2, 1, v2
	s_branch .LBB22_103
.LBB22_108:                             ;   in Loop: Header=BB22_30 Depth=1
	global_load_dwordx4 v[0:3], v[0:1], off
	s_and_saveexec_b64 s[6:7], s[4:5]
	s_cbranch_execz .LBB22_29
; %bb.109:                              ;   in Loop: Header=BB22_30 Depth=1
	global_load_dwordx2 v[2:3], v33, s[10:11] offset:40
	global_load_dwordx2 v[8:9], v33, s[10:11] offset:24 glc
	global_load_dwordx2 v[16:17], v33, s[10:11]
	v_mov_b32_e32 v13, s15
	s_waitcnt vmcnt(2)
	v_add_co_u32_e32 v15, vcc, 1, v2
	v_addc_co_u32_e32 v18, vcc, 0, v3, vcc
	v_add_co_u32_e32 v12, vcc, s14, v15
	v_addc_co_u32_e32 v13, vcc, v18, v13, vcc
	v_cmp_eq_u64_e32 vcc, 0, v[12:13]
	v_cndmask_b32_e32 v13, v13, v18, vcc
	v_cndmask_b32_e32 v12, v12, v15, vcc
	v_and_b32_e32 v3, v13, v3
	v_and_b32_e32 v2, v12, v2
	v_mul_lo_u32 v3, v3, 24
	v_mul_hi_u32 v15, v2, 24
	v_mul_lo_u32 v2, v2, 24
	v_add_u32_e32 v3, v15, v3
	s_waitcnt vmcnt(0)
	v_add_co_u32_e32 v2, vcc, v16, v2
	v_addc_co_u32_e32 v3, vcc, v17, v3, vcc
	v_mov_b32_e32 v14, v8
	global_store_dwordx2 v[2:3], v[8:9], off
	v_mov_b32_e32 v15, v9
	buffer_wbl2
	s_waitcnt vmcnt(0)
	global_atomic_cmpswap_x2 v[14:15], v33, v[12:15], s[10:11] offset:24 glc
	s_waitcnt vmcnt(0)
	v_cmp_ne_u64_e32 vcc, v[14:15], v[8:9]
	s_and_b64 exec, exec, vcc
	s_cbranch_execz .LBB22_29
; %bb.110:                              ;   in Loop: Header=BB22_30 Depth=1
	s_mov_b64 s[4:5], 0
.LBB22_111:                             ;   Parent Loop BB22_30 Depth=1
                                        ; =>  This Inner Loop Header: Depth=2
	s_sleep 1
	global_store_dwordx2 v[2:3], v[14:15], off
	buffer_wbl2
	s_waitcnt vmcnt(0)
	global_atomic_cmpswap_x2 v[8:9], v33, v[12:15], s[10:11] offset:24 glc
	s_waitcnt vmcnt(0)
	v_cmp_eq_u64_e32 vcc, v[8:9], v[14:15]
	s_or_b64 s[4:5], vcc, s[4:5]
	v_pk_mov_b32 v[14:15], v[8:9], v[8:9] op_sel:[0,1]
	s_andn2_b64 exec, exec, s[4:5]
	s_cbranch_execnz .LBB22_111
	s_branch .LBB22_29
.LBB22_112:
                                        ; implicit-def: $vgpr0_vgpr1
	s_cbranch_execnz .LBB22_114
	s_branch .LBB22_140
.LBB22_113:
	s_or_b64 exec, exec, s[12:13]
	s_branch .LBB22_140
.LBB22_114:
	v_readfirstlane_b32 s4, v37
	v_cmp_eq_u32_e64 s[4:5], s4, v37
	v_pk_mov_b32 v[10:11], 0, 0
	s_and_saveexec_b64 s[6:7], s[4:5]
	s_cbranch_execz .LBB22_120
; %bb.115:
	s_waitcnt vmcnt(0)
	v_mov_b32_e32 v0, 0
	global_load_dwordx2 v[12:13], v0, s[10:11] offset:24 glc
	s_waitcnt vmcnt(0)
	buffer_invl2
	buffer_wbinvl1_vol
	global_load_dwordx2 v[2:3], v0, s[10:11] offset:40
	global_load_dwordx2 v[8:9], v0, s[10:11]
	s_waitcnt vmcnt(1)
	v_and_b32_e32 v1, v2, v12
	v_and_b32_e32 v2, v3, v13
	v_mul_lo_u32 v2, v2, 24
	v_mul_hi_u32 v3, v1, 24
	v_mul_lo_u32 v1, v1, 24
	v_add_u32_e32 v3, v3, v2
	s_waitcnt vmcnt(0)
	v_add_co_u32_e32 v2, vcc, v8, v1
	v_addc_co_u32_e32 v3, vcc, v9, v3, vcc
	global_load_dwordx2 v[10:11], v[2:3], off glc
	s_waitcnt vmcnt(0)
	global_atomic_cmpswap_x2 v[10:11], v0, v[10:13], s[10:11] offset:24 glc
	s_waitcnt vmcnt(0)
	buffer_invl2
	buffer_wbinvl1_vol
	v_cmp_ne_u64_e32 vcc, v[10:11], v[12:13]
	s_and_saveexec_b64 s[12:13], vcc
	s_cbranch_execz .LBB22_119
; %bb.116:
	s_mov_b64 s[14:15], 0
.LBB22_117:                             ; =>This Inner Loop Header: Depth=1
	s_sleep 1
	global_load_dwordx2 v[2:3], v0, s[10:11] offset:40
	global_load_dwordx2 v[8:9], v0, s[10:11]
	v_pk_mov_b32 v[12:13], v[10:11], v[10:11] op_sel:[0,1]
	s_waitcnt vmcnt(1)
	v_and_b32_e32 v2, v2, v12
	v_and_b32_e32 v1, v3, v13
	s_waitcnt vmcnt(0)
	v_mad_u64_u32 v[2:3], s[16:17], v2, 24, v[8:9]
	v_mov_b32_e32 v8, v3
	v_mad_u64_u32 v[8:9], s[16:17], v1, 24, v[8:9]
	v_mov_b32_e32 v3, v8
	global_load_dwordx2 v[10:11], v[2:3], off glc
	s_waitcnt vmcnt(0)
	global_atomic_cmpswap_x2 v[10:11], v0, v[10:13], s[10:11] offset:24 glc
	s_waitcnt vmcnt(0)
	buffer_invl2
	buffer_wbinvl1_vol
	v_cmp_eq_u64_e32 vcc, v[10:11], v[12:13]
	s_or_b64 s[14:15], vcc, s[14:15]
	s_andn2_b64 exec, exec, s[14:15]
	s_cbranch_execnz .LBB22_117
; %bb.118:
	s_or_b64 exec, exec, s[14:15]
.LBB22_119:
	s_or_b64 exec, exec, s[12:13]
.LBB22_120:
	s_or_b64 exec, exec, s[6:7]
	v_mov_b32_e32 v8, 0
	global_load_dwordx2 v[12:13], v8, s[10:11] offset:40
	global_load_dwordx4 v[0:3], v8, s[10:11]
	v_readfirstlane_b32 s6, v10
	v_readfirstlane_b32 s7, v11
	s_mov_b64 s[12:13], exec
	s_waitcnt vmcnt(1)
	v_readfirstlane_b32 s14, v12
	v_readfirstlane_b32 s15, v13
	s_and_b64 s[14:15], s[6:7], s[14:15]
	s_mul_i32 s16, s15, 24
	s_mul_hi_u32 s17, s14, 24
	s_mul_i32 s18, s14, 24
	s_add_i32 s16, s17, s16
	v_mov_b32_e32 v9, s16
	s_waitcnt vmcnt(0)
	v_add_co_u32_e32 v10, vcc, s18, v0
	v_addc_co_u32_e32 v11, vcc, v1, v9, vcc
	s_and_saveexec_b64 s[16:17], s[4:5]
	s_cbranch_execz .LBB22_122
; %bb.121:
	v_pk_mov_b32 v[12:13], s[12:13], s[12:13] op_sel:[0,1]
	v_mov_b32_e32 v14, 2
	v_mov_b32_e32 v15, 1
	global_store_dwordx4 v[10:11], v[12:15], off offset:8
.LBB22_122:
	s_or_b64 exec, exec, s[16:17]
	s_lshl_b64 s[12:13], s[14:15], 12
	v_mov_b32_e32 v9, s13
	v_add_co_u32_e32 v2, vcc, s12, v2
	s_movk_i32 s12, 0xff1f
	v_addc_co_u32_e32 v3, vcc, v3, v9, vcc
	v_and_or_b32 v6, v6, s12, 32
	s_mov_b32 s12, 0
	v_mov_b32_e32 v9, v8
	v_readfirstlane_b32 s16, v2
	v_readfirstlane_b32 s17, v3
	s_mov_b32 s13, s12
	v_add_co_u32_e32 v12, vcc, v2, v36
	s_mov_b32 s14, s12
	s_mov_b32 s15, s12
	s_nop 0
	global_store_dwordx4 v36, v[6:9], s[16:17]
	v_addc_co_u32_e32 v13, vcc, 0, v3, vcc
	v_pk_mov_b32 v[6:7], s[12:13], s[12:13] op_sel:[0,1]
	v_pk_mov_b32 v[8:9], s[14:15], s[14:15] op_sel:[0,1]
	global_store_dwordx4 v36, v[6:9], s[16:17] offset:16
	global_store_dwordx4 v36, v[6:9], s[16:17] offset:32
	;; [unrolled: 1-line block ×3, first 2 shown]
	s_and_saveexec_b64 s[12:13], s[4:5]
	s_cbranch_execz .LBB22_130
; %bb.123:
	v_mov_b32_e32 v8, 0
	global_load_dwordx2 v[16:17], v8, s[10:11] offset:32 glc
	global_load_dwordx2 v[2:3], v8, s[10:11] offset:40
	v_mov_b32_e32 v14, s6
	v_mov_b32_e32 v15, s7
	s_waitcnt vmcnt(0)
	v_readfirstlane_b32 s14, v2
	v_readfirstlane_b32 s15, v3
	s_and_b64 s[14:15], s[14:15], s[6:7]
	s_mul_i32 s15, s15, 24
	s_mul_hi_u32 s16, s14, 24
	s_mul_i32 s14, s14, 24
	s_add_i32 s15, s16, s15
	v_mov_b32_e32 v2, s15
	v_add_co_u32_e32 v6, vcc, s14, v0
	v_addc_co_u32_e32 v7, vcc, v1, v2, vcc
	global_store_dwordx2 v[6:7], v[16:17], off
	buffer_wbl2
	s_waitcnt vmcnt(0)
	global_atomic_cmpswap_x2 v[2:3], v8, v[14:17], s[10:11] offset:32 glc
	s_waitcnt vmcnt(0)
	v_cmp_ne_u64_e32 vcc, v[2:3], v[16:17]
	s_and_saveexec_b64 s[14:15], vcc
	s_cbranch_execz .LBB22_126
; %bb.124:
	s_mov_b64 s[16:17], 0
.LBB22_125:                             ; =>This Inner Loop Header: Depth=1
	s_sleep 1
	global_store_dwordx2 v[6:7], v[2:3], off
	v_mov_b32_e32 v0, s6
	v_mov_b32_e32 v1, s7
	buffer_wbl2
	s_waitcnt vmcnt(0)
	global_atomic_cmpswap_x2 v[0:1], v8, v[0:3], s[10:11] offset:32 glc
	s_waitcnt vmcnt(0)
	v_cmp_eq_u64_e32 vcc, v[0:1], v[2:3]
	s_or_b64 s[16:17], vcc, s[16:17]
	v_pk_mov_b32 v[2:3], v[0:1], v[0:1] op_sel:[0,1]
	s_andn2_b64 exec, exec, s[16:17]
	s_cbranch_execnz .LBB22_125
.LBB22_126:
	s_or_b64 exec, exec, s[14:15]
	v_mov_b32_e32 v3, 0
	global_load_dwordx2 v[0:1], v3, s[10:11] offset:16
	s_mov_b64 s[14:15], exec
	v_mbcnt_lo_u32_b32 v2, s14, 0
	v_mbcnt_hi_u32_b32 v2, s15, v2
	v_cmp_eq_u32_e32 vcc, 0, v2
	s_and_saveexec_b64 s[16:17], vcc
	s_cbranch_execz .LBB22_128
; %bb.127:
	s_bcnt1_i32_b64 s14, s[14:15]
	v_mov_b32_e32 v2, s14
	buffer_wbl2
	s_waitcnt vmcnt(0)
	global_atomic_add_x2 v[0:1], v[2:3], off offset:8
.LBB22_128:
	s_or_b64 exec, exec, s[16:17]
	s_waitcnt vmcnt(0)
	global_load_dwordx2 v[2:3], v[0:1], off offset:16
	s_waitcnt vmcnt(0)
	v_cmp_eq_u64_e32 vcc, 0, v[2:3]
	s_cbranch_vccnz .LBB22_130
; %bb.129:
	global_load_dword v0, v[0:1], off offset:24
	v_mov_b32_e32 v1, 0
	buffer_wbl2
	s_waitcnt vmcnt(0)
	global_store_dwordx2 v[2:3], v[0:1], off
	v_and_b32_e32 v0, 0xffffff, v0
	v_readfirstlane_b32 m0, v0
	s_sendmsg sendmsg(MSG_INTERRUPT)
.LBB22_130:
	s_or_b64 exec, exec, s[12:13]
	s_branch .LBB22_134
.LBB22_131:                             ;   in Loop: Header=BB22_134 Depth=1
	s_or_b64 exec, exec, s[12:13]
	v_readfirstlane_b32 s12, v0
	s_cmp_eq_u32 s12, 0
	s_cbranch_scc1 .LBB22_133
; %bb.132:                              ;   in Loop: Header=BB22_134 Depth=1
	s_sleep 1
	s_cbranch_execnz .LBB22_134
	s_branch .LBB22_136
.LBB22_133:
	s_branch .LBB22_136
.LBB22_134:                             ; =>This Inner Loop Header: Depth=1
	v_mov_b32_e32 v0, 1
	s_and_saveexec_b64 s[12:13], s[4:5]
	s_cbranch_execz .LBB22_131
; %bb.135:                              ;   in Loop: Header=BB22_134 Depth=1
	global_load_dword v0, v[10:11], off offset:20 glc
	s_waitcnt vmcnt(0)
	buffer_invl2
	buffer_wbinvl1_vol
	v_and_b32_e32 v0, 1, v0
	s_branch .LBB22_131
.LBB22_136:
	global_load_dwordx2 v[0:1], v[12:13], off
	s_and_saveexec_b64 s[12:13], s[4:5]
	s_cbranch_execz .LBB22_139
; %bb.137:
	v_mov_b32_e32 v10, 0
	global_load_dwordx2 v[2:3], v10, s[10:11] offset:40
	global_load_dwordx2 v[12:13], v10, s[10:11] offset:24 glc
	global_load_dwordx2 v[14:15], v10, s[10:11]
	v_mov_b32_e32 v7, s7
	s_mov_b64 s[4:5], 0
	s_waitcnt vmcnt(2)
	v_add_co_u32_e32 v9, vcc, 1, v2
	v_addc_co_u32_e32 v11, vcc, 0, v3, vcc
	v_add_co_u32_e32 v6, vcc, s6, v9
	v_addc_co_u32_e32 v7, vcc, v11, v7, vcc
	v_cmp_eq_u64_e32 vcc, 0, v[6:7]
	v_cndmask_b32_e32 v7, v7, v11, vcc
	v_cndmask_b32_e32 v6, v6, v9, vcc
	v_and_b32_e32 v3, v7, v3
	v_and_b32_e32 v2, v6, v2
	v_mul_lo_u32 v3, v3, 24
	v_mul_hi_u32 v9, v2, 24
	v_mul_lo_u32 v2, v2, 24
	v_add_u32_e32 v3, v9, v3
	s_waitcnt vmcnt(0)
	v_add_co_u32_e32 v2, vcc, v14, v2
	v_addc_co_u32_e32 v3, vcc, v15, v3, vcc
	v_mov_b32_e32 v8, v12
	global_store_dwordx2 v[2:3], v[12:13], off
	v_mov_b32_e32 v9, v13
	buffer_wbl2
	s_waitcnt vmcnt(0)
	global_atomic_cmpswap_x2 v[8:9], v10, v[6:9], s[10:11] offset:24 glc
	s_waitcnt vmcnt(0)
	v_cmp_ne_u64_e32 vcc, v[8:9], v[12:13]
	s_and_b64 exec, exec, vcc
	s_cbranch_execz .LBB22_139
.LBB22_138:                             ; =>This Inner Loop Header: Depth=1
	s_sleep 1
	global_store_dwordx2 v[2:3], v[8:9], off
	buffer_wbl2
	s_waitcnt vmcnt(0)
	global_atomic_cmpswap_x2 v[12:13], v10, v[6:9], s[10:11] offset:24 glc
	s_waitcnt vmcnt(0)
	v_cmp_eq_u64_e32 vcc, v[12:13], v[8:9]
	s_or_b64 s[4:5], vcc, s[4:5]
	v_pk_mov_b32 v[8:9], v[12:13], v[12:13] op_sel:[0,1]
	s_andn2_b64 exec, exec, s[4:5]
	s_cbranch_execnz .LBB22_138
.LBB22_139:
	s_or_b64 exec, exec, s[12:13]
.LBB22_140:
	s_getpc_b64 s[6:7]
	s_add_u32 s6, s6, .str.2@rel32@lo+4
	s_addc_u32 s7, s7, .str.2@rel32@hi+12
	s_cmp_lg_u64 s[6:7], 0
	s_cbranch_scc0 .LBB22_224
; %bb.141:
	s_getpc_b64 s[4:5]
	s_add_u32 s4, s4, .str.2@rel32@lo+81
	s_addc_u32 s5, s5, .str.2@rel32@hi+89
	s_sub_i32 s12, s4, s6
	s_ashr_i32 s13, s12, 31
	s_waitcnt vmcnt(0)
	v_and_b32_e32 v2, 2, v0
	v_mov_b32_e32 v33, 0
	v_and_b32_e32 v6, -3, v0
	v_mov_b32_e32 v7, v1
	v_mov_b32_e32 v10, 2
	;; [unrolled: 1-line block ×3, first 2 shown]
	s_branch .LBB22_143
.LBB22_142:                             ;   in Loop: Header=BB22_143 Depth=1
	s_or_b64 exec, exec, s[18:19]
	s_sub_u32 s12, s12, s14
	s_subb_u32 s13, s13, s15
	s_add_u32 s6, s6, s14
	s_addc_u32 s7, s7, s15
	s_cmp_lg_u64 s[12:13], 0
	s_cbranch_scc0 .LBB22_225
.LBB22_143:                             ; =>This Loop Header: Depth=1
                                        ;     Child Loop BB22_146 Depth 2
                                        ;     Child Loop BB22_153 Depth 2
	;; [unrolled: 1-line block ×11, first 2 shown]
	v_cmp_lt_u64_e64 s[4:5], s[12:13], 56
	s_and_b64 s[4:5], s[4:5], exec
	v_cmp_gt_u64_e64 s[4:5], s[12:13], 7
	s_cselect_b32 s15, s13, 0
	s_cselect_b32 s14, s12, 56
	s_and_b64 vcc, exec, s[4:5]
	s_cbranch_vccnz .LBB22_148
; %bb.144:                              ;   in Loop: Header=BB22_143 Depth=1
	s_mov_b64 s[4:5], 0
	s_cmp_eq_u64 s[12:13], 0
	v_pk_mov_b32 v[14:15], 0, 0
	s_cbranch_scc1 .LBB22_147
; %bb.145:                              ;   in Loop: Header=BB22_143 Depth=1
	s_lshl_b64 s[16:17], s[14:15], 3
	s_mov_b64 s[18:19], 0
	v_pk_mov_b32 v[14:15], 0, 0
	s_mov_b64 s[20:21], s[6:7]
.LBB22_146:                             ;   Parent Loop BB22_143 Depth=1
                                        ; =>  This Inner Loop Header: Depth=2
	global_load_ubyte v3, v33, s[20:21]
	s_waitcnt vmcnt(0)
	v_and_b32_e32 v32, 0xffff, v3
	v_lshlrev_b64 v[8:9], s18, v[32:33]
	s_add_u32 s18, s18, 8
	s_addc_u32 s19, s19, 0
	s_add_u32 s20, s20, 1
	s_addc_u32 s21, s21, 0
	v_or_b32_e32 v14, v8, v14
	s_cmp_lg_u32 s16, s18
	v_or_b32_e32 v15, v9, v15
	s_cbranch_scc1 .LBB22_146
.LBB22_147:                             ;   in Loop: Header=BB22_143 Depth=1
	s_mov_b32 s20, 0
	s_andn2_b64 vcc, exec, s[4:5]
	s_mov_b64 s[4:5], s[6:7]
	s_cbranch_vccz .LBB22_149
	s_branch .LBB22_150
.LBB22_148:                             ;   in Loop: Header=BB22_143 Depth=1
                                        ; implicit-def: $vgpr14_vgpr15
                                        ; implicit-def: $sgpr20
	s_mov_b64 s[4:5], s[6:7]
.LBB22_149:                             ;   in Loop: Header=BB22_143 Depth=1
	global_load_dwordx2 v[14:15], v33, s[6:7]
	s_add_i32 s20, s14, -8
	s_add_u32 s4, s6, 8
	s_addc_u32 s5, s7, 0
.LBB22_150:                             ;   in Loop: Header=BB22_143 Depth=1
	s_cmp_gt_u32 s20, 7
	s_cbranch_scc1 .LBB22_154
; %bb.151:                              ;   in Loop: Header=BB22_143 Depth=1
	s_cmp_eq_u32 s20, 0
	s_cbranch_scc1 .LBB22_155
; %bb.152:                              ;   in Loop: Header=BB22_143 Depth=1
	s_mov_b64 s[16:17], 0
	v_pk_mov_b32 v[16:17], 0, 0
	s_mov_b64 s[18:19], 0
.LBB22_153:                             ;   Parent Loop BB22_143 Depth=1
                                        ; =>  This Inner Loop Header: Depth=2
	s_add_u32 s22, s4, s18
	s_addc_u32 s23, s5, s19
	global_load_ubyte v3, v33, s[22:23]
	s_add_u32 s18, s18, 1
	s_addc_u32 s19, s19, 0
	s_waitcnt vmcnt(0)
	v_and_b32_e32 v32, 0xffff, v3
	v_lshlrev_b64 v[8:9], s16, v[32:33]
	s_add_u32 s16, s16, 8
	s_addc_u32 s17, s17, 0
	v_or_b32_e32 v16, v8, v16
	s_cmp_lg_u32 s20, s18
	v_or_b32_e32 v17, v9, v17
	s_cbranch_scc1 .LBB22_153
	s_branch .LBB22_156
.LBB22_154:                             ;   in Loop: Header=BB22_143 Depth=1
                                        ; implicit-def: $vgpr16_vgpr17
                                        ; implicit-def: $sgpr21
	s_branch .LBB22_157
.LBB22_155:                             ;   in Loop: Header=BB22_143 Depth=1
	v_pk_mov_b32 v[16:17], 0, 0
.LBB22_156:                             ;   in Loop: Header=BB22_143 Depth=1
	s_mov_b32 s21, 0
	s_cbranch_execnz .LBB22_158
.LBB22_157:                             ;   in Loop: Header=BB22_143 Depth=1
	global_load_dwordx2 v[16:17], v33, s[4:5]
	s_add_i32 s21, s20, -8
	s_add_u32 s4, s4, 8
	s_addc_u32 s5, s5, 0
.LBB22_158:                             ;   in Loop: Header=BB22_143 Depth=1
	s_cmp_gt_u32 s21, 7
	s_cbranch_scc1 .LBB22_162
; %bb.159:                              ;   in Loop: Header=BB22_143 Depth=1
	s_cmp_eq_u32 s21, 0
	s_cbranch_scc1 .LBB22_163
; %bb.160:                              ;   in Loop: Header=BB22_143 Depth=1
	s_mov_b64 s[16:17], 0
	v_pk_mov_b32 v[18:19], 0, 0
	s_mov_b64 s[18:19], 0
.LBB22_161:                             ;   Parent Loop BB22_143 Depth=1
                                        ; =>  This Inner Loop Header: Depth=2
	s_add_u32 s22, s4, s18
	s_addc_u32 s23, s5, s19
	global_load_ubyte v3, v33, s[22:23]
	s_add_u32 s18, s18, 1
	s_addc_u32 s19, s19, 0
	s_waitcnt vmcnt(0)
	v_and_b32_e32 v32, 0xffff, v3
	v_lshlrev_b64 v[8:9], s16, v[32:33]
	s_add_u32 s16, s16, 8
	s_addc_u32 s17, s17, 0
	v_or_b32_e32 v18, v8, v18
	s_cmp_lg_u32 s21, s18
	v_or_b32_e32 v19, v9, v19
	s_cbranch_scc1 .LBB22_161
	s_branch .LBB22_164
.LBB22_162:                             ;   in Loop: Header=BB22_143 Depth=1
                                        ; implicit-def: $sgpr20
	s_branch .LBB22_165
.LBB22_163:                             ;   in Loop: Header=BB22_143 Depth=1
	v_pk_mov_b32 v[18:19], 0, 0
.LBB22_164:                             ;   in Loop: Header=BB22_143 Depth=1
	s_mov_b32 s20, 0
	s_cbranch_execnz .LBB22_166
.LBB22_165:                             ;   in Loop: Header=BB22_143 Depth=1
	global_load_dwordx2 v[18:19], v33, s[4:5]
	s_add_i32 s20, s21, -8
	s_add_u32 s4, s4, 8
	s_addc_u32 s5, s5, 0
.LBB22_166:                             ;   in Loop: Header=BB22_143 Depth=1
	s_cmp_gt_u32 s20, 7
	s_cbranch_scc1 .LBB22_170
; %bb.167:                              ;   in Loop: Header=BB22_143 Depth=1
	s_cmp_eq_u32 s20, 0
	s_cbranch_scc1 .LBB22_171
; %bb.168:                              ;   in Loop: Header=BB22_143 Depth=1
	s_mov_b64 s[16:17], 0
	v_pk_mov_b32 v[20:21], 0, 0
	s_mov_b64 s[18:19], 0
.LBB22_169:                             ;   Parent Loop BB22_143 Depth=1
                                        ; =>  This Inner Loop Header: Depth=2
	s_add_u32 s22, s4, s18
	s_addc_u32 s23, s5, s19
	global_load_ubyte v3, v33, s[22:23]
	s_add_u32 s18, s18, 1
	s_addc_u32 s19, s19, 0
	s_waitcnt vmcnt(0)
	v_and_b32_e32 v32, 0xffff, v3
	v_lshlrev_b64 v[8:9], s16, v[32:33]
	s_add_u32 s16, s16, 8
	s_addc_u32 s17, s17, 0
	v_or_b32_e32 v20, v8, v20
	s_cmp_lg_u32 s20, s18
	v_or_b32_e32 v21, v9, v21
	s_cbranch_scc1 .LBB22_169
	s_branch .LBB22_172
.LBB22_170:                             ;   in Loop: Header=BB22_143 Depth=1
                                        ; implicit-def: $vgpr20_vgpr21
                                        ; implicit-def: $sgpr21
	s_branch .LBB22_173
.LBB22_171:                             ;   in Loop: Header=BB22_143 Depth=1
	v_pk_mov_b32 v[20:21], 0, 0
.LBB22_172:                             ;   in Loop: Header=BB22_143 Depth=1
	s_mov_b32 s21, 0
	s_cbranch_execnz .LBB22_174
.LBB22_173:                             ;   in Loop: Header=BB22_143 Depth=1
	global_load_dwordx2 v[20:21], v33, s[4:5]
	s_add_i32 s21, s20, -8
	s_add_u32 s4, s4, 8
	s_addc_u32 s5, s5, 0
.LBB22_174:                             ;   in Loop: Header=BB22_143 Depth=1
	s_cmp_gt_u32 s21, 7
	s_cbranch_scc1 .LBB22_178
; %bb.175:                              ;   in Loop: Header=BB22_143 Depth=1
	s_cmp_eq_u32 s21, 0
	s_cbranch_scc1 .LBB22_179
; %bb.176:                              ;   in Loop: Header=BB22_143 Depth=1
	s_mov_b64 s[16:17], 0
	v_pk_mov_b32 v[22:23], 0, 0
	s_mov_b64 s[18:19], 0
.LBB22_177:                             ;   Parent Loop BB22_143 Depth=1
                                        ; =>  This Inner Loop Header: Depth=2
	s_add_u32 s22, s4, s18
	s_addc_u32 s23, s5, s19
	global_load_ubyte v3, v33, s[22:23]
	s_add_u32 s18, s18, 1
	s_addc_u32 s19, s19, 0
	s_waitcnt vmcnt(0)
	v_and_b32_e32 v32, 0xffff, v3
	v_lshlrev_b64 v[8:9], s16, v[32:33]
	s_add_u32 s16, s16, 8
	s_addc_u32 s17, s17, 0
	v_or_b32_e32 v22, v8, v22
	s_cmp_lg_u32 s21, s18
	v_or_b32_e32 v23, v9, v23
	s_cbranch_scc1 .LBB22_177
	s_branch .LBB22_180
.LBB22_178:                             ;   in Loop: Header=BB22_143 Depth=1
                                        ; implicit-def: $sgpr20
	s_branch .LBB22_181
.LBB22_179:                             ;   in Loop: Header=BB22_143 Depth=1
	v_pk_mov_b32 v[22:23], 0, 0
.LBB22_180:                             ;   in Loop: Header=BB22_143 Depth=1
	s_mov_b32 s20, 0
	s_cbranch_execnz .LBB22_182
.LBB22_181:                             ;   in Loop: Header=BB22_143 Depth=1
	global_load_dwordx2 v[22:23], v33, s[4:5]
	s_add_i32 s20, s21, -8
	s_add_u32 s4, s4, 8
	s_addc_u32 s5, s5, 0
.LBB22_182:                             ;   in Loop: Header=BB22_143 Depth=1
	s_cmp_gt_u32 s20, 7
	s_cbranch_scc1 .LBB22_186
; %bb.183:                              ;   in Loop: Header=BB22_143 Depth=1
	s_cmp_eq_u32 s20, 0
	s_cbranch_scc1 .LBB22_187
; %bb.184:                              ;   in Loop: Header=BB22_143 Depth=1
	s_mov_b64 s[16:17], 0
	v_pk_mov_b32 v[24:25], 0, 0
	s_mov_b64 s[18:19], 0
.LBB22_185:                             ;   Parent Loop BB22_143 Depth=1
                                        ; =>  This Inner Loop Header: Depth=2
	s_add_u32 s22, s4, s18
	s_addc_u32 s23, s5, s19
	global_load_ubyte v3, v33, s[22:23]
	s_add_u32 s18, s18, 1
	s_addc_u32 s19, s19, 0
	s_waitcnt vmcnt(0)
	v_and_b32_e32 v32, 0xffff, v3
	v_lshlrev_b64 v[8:9], s16, v[32:33]
	s_add_u32 s16, s16, 8
	s_addc_u32 s17, s17, 0
	v_or_b32_e32 v24, v8, v24
	s_cmp_lg_u32 s20, s18
	v_or_b32_e32 v25, v9, v25
	s_cbranch_scc1 .LBB22_185
	s_branch .LBB22_188
.LBB22_186:                             ;   in Loop: Header=BB22_143 Depth=1
                                        ; implicit-def: $vgpr24_vgpr25
                                        ; implicit-def: $sgpr21
	s_branch .LBB22_189
.LBB22_187:                             ;   in Loop: Header=BB22_143 Depth=1
	v_pk_mov_b32 v[24:25], 0, 0
.LBB22_188:                             ;   in Loop: Header=BB22_143 Depth=1
	s_mov_b32 s21, 0
	s_cbranch_execnz .LBB22_190
.LBB22_189:                             ;   in Loop: Header=BB22_143 Depth=1
	global_load_dwordx2 v[24:25], v33, s[4:5]
	s_add_i32 s21, s20, -8
	s_add_u32 s4, s4, 8
	s_addc_u32 s5, s5, 0
.LBB22_190:                             ;   in Loop: Header=BB22_143 Depth=1
	s_cmp_gt_u32 s21, 7
	s_cbranch_scc1 .LBB22_194
; %bb.191:                              ;   in Loop: Header=BB22_143 Depth=1
	s_cmp_eq_u32 s21, 0
	s_cbranch_scc1 .LBB22_195
; %bb.192:                              ;   in Loop: Header=BB22_143 Depth=1
	s_mov_b64 s[16:17], 0
	v_pk_mov_b32 v[26:27], 0, 0
	s_mov_b64 s[18:19], s[4:5]
.LBB22_193:                             ;   Parent Loop BB22_143 Depth=1
                                        ; =>  This Inner Loop Header: Depth=2
	global_load_ubyte v3, v33, s[18:19]
	s_add_i32 s21, s21, -1
	s_waitcnt vmcnt(0)
	v_and_b32_e32 v32, 0xffff, v3
	v_lshlrev_b64 v[8:9], s16, v[32:33]
	s_add_u32 s16, s16, 8
	s_addc_u32 s17, s17, 0
	s_add_u32 s18, s18, 1
	s_addc_u32 s19, s19, 0
	v_or_b32_e32 v26, v8, v26
	s_cmp_lg_u32 s21, 0
	v_or_b32_e32 v27, v9, v27
	s_cbranch_scc1 .LBB22_193
	s_branch .LBB22_196
.LBB22_194:                             ;   in Loop: Header=BB22_143 Depth=1
	s_branch .LBB22_197
.LBB22_195:                             ;   in Loop: Header=BB22_143 Depth=1
	v_pk_mov_b32 v[26:27], 0, 0
.LBB22_196:                             ;   in Loop: Header=BB22_143 Depth=1
	s_cbranch_execnz .LBB22_198
.LBB22_197:                             ;   in Loop: Header=BB22_143 Depth=1
	global_load_dwordx2 v[26:27], v33, s[4:5]
.LBB22_198:                             ;   in Loop: Header=BB22_143 Depth=1
	v_readfirstlane_b32 s4, v37
	v_cmp_eq_u32_e64 s[4:5], s4, v37
	s_waitcnt vmcnt(0)
	v_pk_mov_b32 v[8:9], 0, 0
	s_and_saveexec_b64 s[16:17], s[4:5]
	s_cbranch_execz .LBB22_204
; %bb.199:                              ;   in Loop: Header=BB22_143 Depth=1
	global_load_dwordx2 v[30:31], v33, s[10:11] offset:24 glc
	s_waitcnt vmcnt(0)
	buffer_invl2
	buffer_wbinvl1_vol
	global_load_dwordx2 v[8:9], v33, s[10:11] offset:40
	global_load_dwordx2 v[12:13], v33, s[10:11]
	s_waitcnt vmcnt(1)
	v_and_b32_e32 v3, v8, v30
	v_and_b32_e32 v8, v9, v31
	v_mul_lo_u32 v8, v8, 24
	v_mul_hi_u32 v9, v3, 24
	v_mul_lo_u32 v3, v3, 24
	v_add_u32_e32 v9, v9, v8
	s_waitcnt vmcnt(0)
	v_add_co_u32_e32 v8, vcc, v12, v3
	v_addc_co_u32_e32 v9, vcc, v13, v9, vcc
	global_load_dwordx2 v[28:29], v[8:9], off glc
	s_waitcnt vmcnt(0)
	global_atomic_cmpswap_x2 v[8:9], v33, v[28:31], s[10:11] offset:24 glc
	s_waitcnt vmcnt(0)
	buffer_invl2
	buffer_wbinvl1_vol
	v_cmp_ne_u64_e32 vcc, v[8:9], v[30:31]
	s_and_saveexec_b64 s[18:19], vcc
	s_cbranch_execz .LBB22_203
; %bb.200:                              ;   in Loop: Header=BB22_143 Depth=1
	s_mov_b64 s[20:21], 0
.LBB22_201:                             ;   Parent Loop BB22_143 Depth=1
                                        ; =>  This Inner Loop Header: Depth=2
	s_sleep 1
	global_load_dwordx2 v[12:13], v33, s[10:11] offset:40
	global_load_dwordx2 v[28:29], v33, s[10:11]
	v_pk_mov_b32 v[30:31], v[8:9], v[8:9] op_sel:[0,1]
	s_waitcnt vmcnt(1)
	v_and_b32_e32 v8, v12, v30
	s_waitcnt vmcnt(0)
	v_mad_u64_u32 v[8:9], s[22:23], v8, 24, v[28:29]
	v_and_b32_e32 v3, v13, v31
	v_mov_b32_e32 v12, v9
	v_mad_u64_u32 v[12:13], s[22:23], v3, 24, v[12:13]
	v_mov_b32_e32 v9, v12
	global_load_dwordx2 v[28:29], v[8:9], off glc
	s_waitcnt vmcnt(0)
	global_atomic_cmpswap_x2 v[8:9], v33, v[28:31], s[10:11] offset:24 glc
	s_waitcnt vmcnt(0)
	buffer_invl2
	buffer_wbinvl1_vol
	v_cmp_eq_u64_e32 vcc, v[8:9], v[30:31]
	s_or_b64 s[20:21], vcc, s[20:21]
	s_andn2_b64 exec, exec, s[20:21]
	s_cbranch_execnz .LBB22_201
; %bb.202:                              ;   in Loop: Header=BB22_143 Depth=1
	s_or_b64 exec, exec, s[20:21]
.LBB22_203:                             ;   in Loop: Header=BB22_143 Depth=1
	s_or_b64 exec, exec, s[18:19]
.LBB22_204:                             ;   in Loop: Header=BB22_143 Depth=1
	s_or_b64 exec, exec, s[16:17]
	global_load_dwordx2 v[12:13], v33, s[10:11] offset:40
	global_load_dwordx4 v[28:31], v33, s[10:11]
	v_readfirstlane_b32 s16, v8
	v_readfirstlane_b32 s17, v9
	s_mov_b64 s[18:19], exec
	s_waitcnt vmcnt(1)
	v_readfirstlane_b32 s20, v12
	v_readfirstlane_b32 s21, v13
	s_and_b64 s[20:21], s[16:17], s[20:21]
	s_mul_i32 s22, s21, 24
	s_mul_hi_u32 s23, s20, 24
	s_mul_i32 s24, s20, 24
	s_add_i32 s22, s23, s22
	v_mov_b32_e32 v3, s22
	s_waitcnt vmcnt(0)
	v_add_co_u32_e32 v34, vcc, s24, v28
	v_addc_co_u32_e32 v35, vcc, v29, v3, vcc
	s_and_saveexec_b64 s[22:23], s[4:5]
	s_cbranch_execz .LBB22_206
; %bb.205:                              ;   in Loop: Header=BB22_143 Depth=1
	v_pk_mov_b32 v[8:9], s[18:19], s[18:19] op_sel:[0,1]
	global_store_dwordx4 v[34:35], v[8:11], off offset:8
.LBB22_206:                             ;   in Loop: Header=BB22_143 Depth=1
	s_or_b64 exec, exec, s[22:23]
	s_lshl_b64 s[18:19], s[20:21], 12
	v_mov_b32_e32 v3, s19
	v_add_co_u32_e32 v30, vcc, s18, v30
	v_addc_co_u32_e32 v3, vcc, v31, v3, vcc
	v_or_b32_e32 v9, v6, v2
	v_cmp_gt_u64_e64 vcc, s[12:13], 56
	s_lshl_b32 s18, s14, 2
	v_cndmask_b32_e32 v6, v9, v6, vcc
	s_add_i32 s18, s18, 28
	v_or_b32_e32 v8, 0, v7
	s_and_b32 s18, s18, 0x1e0
	v_and_b32_e32 v6, 0xffffff1f, v6
	v_cndmask_b32_e32 v13, v8, v7, vcc
	v_or_b32_e32 v12, s18, v6
	v_readfirstlane_b32 s18, v30
	v_readfirstlane_b32 s19, v3
	s_nop 4
	global_store_dwordx4 v36, v[12:15], s[18:19]
	global_store_dwordx4 v36, v[16:19], s[18:19] offset:16
	global_store_dwordx4 v36, v[20:23], s[18:19] offset:32
	;; [unrolled: 1-line block ×3, first 2 shown]
	s_and_saveexec_b64 s[18:19], s[4:5]
	s_cbranch_execz .LBB22_214
; %bb.207:                              ;   in Loop: Header=BB22_143 Depth=1
	global_load_dwordx2 v[16:17], v33, s[10:11] offset:32 glc
	global_load_dwordx2 v[6:7], v33, s[10:11] offset:40
	v_mov_b32_e32 v14, s16
	v_mov_b32_e32 v15, s17
	s_waitcnt vmcnt(0)
	v_readfirstlane_b32 s20, v6
	v_readfirstlane_b32 s21, v7
	s_and_b64 s[20:21], s[20:21], s[16:17]
	s_mul_i32 s21, s21, 24
	s_mul_hi_u32 s22, s20, 24
	s_mul_i32 s20, s20, 24
	s_add_i32 s21, s22, s21
	v_mov_b32_e32 v6, s21
	v_add_co_u32_e32 v12, vcc, s20, v28
	v_addc_co_u32_e32 v13, vcc, v29, v6, vcc
	global_store_dwordx2 v[12:13], v[16:17], off
	buffer_wbl2
	s_waitcnt vmcnt(0)
	global_atomic_cmpswap_x2 v[8:9], v33, v[14:17], s[10:11] offset:32 glc
	s_waitcnt vmcnt(0)
	v_cmp_ne_u64_e32 vcc, v[8:9], v[16:17]
	s_and_saveexec_b64 s[20:21], vcc
	s_cbranch_execz .LBB22_210
; %bb.208:                              ;   in Loop: Header=BB22_143 Depth=1
	s_mov_b64 s[22:23], 0
.LBB22_209:                             ;   Parent Loop BB22_143 Depth=1
                                        ; =>  This Inner Loop Header: Depth=2
	s_sleep 1
	global_store_dwordx2 v[12:13], v[8:9], off
	v_mov_b32_e32 v6, s16
	v_mov_b32_e32 v7, s17
	buffer_wbl2
	s_waitcnt vmcnt(0)
	global_atomic_cmpswap_x2 v[6:7], v33, v[6:9], s[10:11] offset:32 glc
	s_waitcnt vmcnt(0)
	v_cmp_eq_u64_e32 vcc, v[6:7], v[8:9]
	s_or_b64 s[22:23], vcc, s[22:23]
	v_pk_mov_b32 v[8:9], v[6:7], v[6:7] op_sel:[0,1]
	s_andn2_b64 exec, exec, s[22:23]
	s_cbranch_execnz .LBB22_209
.LBB22_210:                             ;   in Loop: Header=BB22_143 Depth=1
	s_or_b64 exec, exec, s[20:21]
	global_load_dwordx2 v[6:7], v33, s[10:11] offset:16
	s_mov_b64 s[22:23], exec
	v_mbcnt_lo_u32_b32 v8, s22, 0
	v_mbcnt_hi_u32_b32 v8, s23, v8
	v_cmp_eq_u32_e32 vcc, 0, v8
	s_and_saveexec_b64 s[20:21], vcc
	s_cbranch_execz .LBB22_212
; %bb.211:                              ;   in Loop: Header=BB22_143 Depth=1
	s_bcnt1_i32_b64 s22, s[22:23]
	v_mov_b32_e32 v32, s22
	buffer_wbl2
	s_waitcnt vmcnt(0)
	global_atomic_add_x2 v[6:7], v[32:33], off offset:8
.LBB22_212:                             ;   in Loop: Header=BB22_143 Depth=1
	s_or_b64 exec, exec, s[20:21]
	s_waitcnt vmcnt(0)
	global_load_dwordx2 v[8:9], v[6:7], off offset:16
	s_waitcnt vmcnt(0)
	v_cmp_eq_u64_e32 vcc, 0, v[8:9]
	s_cbranch_vccnz .LBB22_214
; %bb.213:                              ;   in Loop: Header=BB22_143 Depth=1
	global_load_dword v32, v[6:7], off offset:24
	s_waitcnt vmcnt(0)
	v_and_b32_e32 v6, 0xffffff, v32
	v_readfirstlane_b32 m0, v6
	buffer_wbl2
	global_store_dwordx2 v[8:9], v[32:33], off
	s_sendmsg sendmsg(MSG_INTERRUPT)
.LBB22_214:                             ;   in Loop: Header=BB22_143 Depth=1
	s_or_b64 exec, exec, s[18:19]
	v_add_co_u32_e32 v6, vcc, v30, v36
	v_addc_co_u32_e32 v7, vcc, 0, v3, vcc
	s_branch .LBB22_218
.LBB22_215:                             ;   in Loop: Header=BB22_218 Depth=2
	s_or_b64 exec, exec, s[18:19]
	v_readfirstlane_b32 s18, v3
	s_cmp_eq_u32 s18, 0
	s_cbranch_scc1 .LBB22_217
; %bb.216:                              ;   in Loop: Header=BB22_218 Depth=2
	s_sleep 1
	s_cbranch_execnz .LBB22_218
	s_branch .LBB22_220
.LBB22_217:                             ;   in Loop: Header=BB22_143 Depth=1
	s_branch .LBB22_220
.LBB22_218:                             ;   Parent Loop BB22_143 Depth=1
                                        ; =>  This Inner Loop Header: Depth=2
	v_mov_b32_e32 v3, 1
	s_and_saveexec_b64 s[18:19], s[4:5]
	s_cbranch_execz .LBB22_215
; %bb.219:                              ;   in Loop: Header=BB22_218 Depth=2
	global_load_dword v3, v[34:35], off offset:20 glc
	s_waitcnt vmcnt(0)
	buffer_invl2
	buffer_wbinvl1_vol
	v_and_b32_e32 v3, 1, v3
	s_branch .LBB22_215
.LBB22_220:                             ;   in Loop: Header=BB22_143 Depth=1
	global_load_dwordx4 v[6:9], v[6:7], off
	s_and_saveexec_b64 s[18:19], s[4:5]
	s_cbranch_execz .LBB22_142
; %bb.221:                              ;   in Loop: Header=BB22_143 Depth=1
	global_load_dwordx2 v[8:9], v33, s[10:11] offset:40
	global_load_dwordx2 v[16:17], v33, s[10:11] offset:24 glc
	global_load_dwordx2 v[18:19], v33, s[10:11]
	v_mov_b32_e32 v3, s17
	s_waitcnt vmcnt(2)
	v_add_co_u32_e32 v15, vcc, 1, v8
	v_addc_co_u32_e32 v20, vcc, 0, v9, vcc
	v_add_co_u32_e32 v12, vcc, s16, v15
	v_addc_co_u32_e32 v13, vcc, v20, v3, vcc
	v_cmp_eq_u64_e32 vcc, 0, v[12:13]
	v_cndmask_b32_e32 v13, v13, v20, vcc
	v_cndmask_b32_e32 v12, v12, v15, vcc
	v_and_b32_e32 v3, v13, v9
	v_and_b32_e32 v8, v12, v8
	v_mul_lo_u32 v3, v3, 24
	v_mul_hi_u32 v9, v8, 24
	v_mul_lo_u32 v8, v8, 24
	v_add_u32_e32 v3, v9, v3
	s_waitcnt vmcnt(0)
	v_add_co_u32_e32 v8, vcc, v18, v8
	v_addc_co_u32_e32 v9, vcc, v19, v3, vcc
	v_mov_b32_e32 v14, v16
	global_store_dwordx2 v[8:9], v[16:17], off
	v_mov_b32_e32 v15, v17
	buffer_wbl2
	s_waitcnt vmcnt(0)
	global_atomic_cmpswap_x2 v[14:15], v33, v[12:15], s[10:11] offset:24 glc
	s_waitcnt vmcnt(0)
	v_cmp_ne_u64_e32 vcc, v[14:15], v[16:17]
	s_and_b64 exec, exec, vcc
	s_cbranch_execz .LBB22_142
; %bb.222:                              ;   in Loop: Header=BB22_143 Depth=1
	s_mov_b64 s[4:5], 0
.LBB22_223:                             ;   Parent Loop BB22_143 Depth=1
                                        ; =>  This Inner Loop Header: Depth=2
	s_sleep 1
	global_store_dwordx2 v[8:9], v[14:15], off
	buffer_wbl2
	s_waitcnt vmcnt(0)
	global_atomic_cmpswap_x2 v[16:17], v33, v[12:15], s[10:11] offset:24 glc
	s_waitcnt vmcnt(0)
	v_cmp_eq_u64_e32 vcc, v[16:17], v[14:15]
	s_or_b64 s[4:5], vcc, s[4:5]
	v_pk_mov_b32 v[14:15], v[16:17], v[16:17] op_sel:[0,1]
	s_andn2_b64 exec, exec, s[4:5]
	s_cbranch_execnz .LBB22_223
	s_branch .LBB22_142
.LBB22_224:
                                        ; implicit-def: $vgpr6_vgpr7
	s_cbranch_execnz .LBB22_226
	s_branch .LBB22_252
.LBB22_225:
	s_branch .LBB22_252
.LBB22_226:
	v_readfirstlane_b32 s4, v37
	v_cmp_eq_u32_e64 s[4:5], s4, v37
	v_pk_mov_b32 v[10:11], 0, 0
	s_and_saveexec_b64 s[6:7], s[4:5]
	s_cbranch_execz .LBB22_232
; %bb.227:
	s_waitcnt vmcnt(0)
	v_mov_b32_e32 v2, 0
	global_load_dwordx2 v[8:9], v2, s[10:11] offset:24 glc
	s_waitcnt vmcnt(0)
	buffer_invl2
	buffer_wbinvl1_vol
	global_load_dwordx2 v[6:7], v2, s[10:11] offset:40
	global_load_dwordx2 v[10:11], v2, s[10:11]
	s_waitcnt vmcnt(1)
	v_and_b32_e32 v3, v6, v8
	v_and_b32_e32 v6, v7, v9
	v_mul_lo_u32 v6, v6, 24
	v_mul_hi_u32 v7, v3, 24
	v_mul_lo_u32 v3, v3, 24
	v_add_u32_e32 v7, v7, v6
	s_waitcnt vmcnt(0)
	v_add_co_u32_e32 v6, vcc, v10, v3
	v_addc_co_u32_e32 v7, vcc, v11, v7, vcc
	global_load_dwordx2 v[6:7], v[6:7], off glc
	s_waitcnt vmcnt(0)
	global_atomic_cmpswap_x2 v[10:11], v2, v[6:9], s[10:11] offset:24 glc
	s_waitcnt vmcnt(0)
	buffer_invl2
	buffer_wbinvl1_vol
	v_cmp_ne_u64_e32 vcc, v[10:11], v[8:9]
	s_and_saveexec_b64 s[12:13], vcc
	s_cbranch_execz .LBB22_231
; %bb.228:
	s_mov_b64 s[14:15], 0
.LBB22_229:                             ; =>This Inner Loop Header: Depth=1
	s_sleep 1
	global_load_dwordx2 v[6:7], v2, s[10:11] offset:40
	global_load_dwordx2 v[12:13], v2, s[10:11]
	v_pk_mov_b32 v[8:9], v[10:11], v[10:11] op_sel:[0,1]
	s_waitcnt vmcnt(1)
	v_and_b32_e32 v6, v6, v8
	v_and_b32_e32 v3, v7, v9
	s_waitcnt vmcnt(0)
	v_mad_u64_u32 v[6:7], s[16:17], v6, 24, v[12:13]
	v_mov_b32_e32 v10, v7
	v_mad_u64_u32 v[10:11], s[16:17], v3, 24, v[10:11]
	v_mov_b32_e32 v7, v10
	global_load_dwordx2 v[6:7], v[6:7], off glc
	s_waitcnt vmcnt(0)
	global_atomic_cmpswap_x2 v[10:11], v2, v[6:9], s[10:11] offset:24 glc
	s_waitcnt vmcnt(0)
	buffer_invl2
	buffer_wbinvl1_vol
	v_cmp_eq_u64_e32 vcc, v[10:11], v[8:9]
	s_or_b64 s[14:15], vcc, s[14:15]
	s_andn2_b64 exec, exec, s[14:15]
	s_cbranch_execnz .LBB22_229
; %bb.230:
	s_or_b64 exec, exec, s[14:15]
.LBB22_231:
	s_or_b64 exec, exec, s[12:13]
.LBB22_232:
	s_or_b64 exec, exec, s[6:7]
	s_waitcnt vmcnt(0)
	v_mov_b32_e32 v2, 0
	global_load_dwordx2 v[12:13], v2, s[10:11] offset:40
	global_load_dwordx4 v[6:9], v2, s[10:11]
	v_readfirstlane_b32 s6, v10
	v_readfirstlane_b32 s7, v11
	s_mov_b64 s[12:13], exec
	s_waitcnt vmcnt(1)
	v_readfirstlane_b32 s14, v12
	v_readfirstlane_b32 s15, v13
	s_and_b64 s[14:15], s[6:7], s[14:15]
	s_mul_i32 s16, s15, 24
	s_mul_hi_u32 s17, s14, 24
	s_mul_i32 s18, s14, 24
	s_add_i32 s16, s17, s16
	v_mov_b32_e32 v3, s16
	s_waitcnt vmcnt(0)
	v_add_co_u32_e32 v10, vcc, s18, v6
	v_addc_co_u32_e32 v11, vcc, v7, v3, vcc
	s_and_saveexec_b64 s[16:17], s[4:5]
	s_cbranch_execz .LBB22_234
; %bb.233:
	v_pk_mov_b32 v[12:13], s[12:13], s[12:13] op_sel:[0,1]
	v_mov_b32_e32 v14, 2
	v_mov_b32_e32 v15, 1
	global_store_dwordx4 v[10:11], v[12:15], off offset:8
.LBB22_234:
	s_or_b64 exec, exec, s[16:17]
	s_lshl_b64 s[12:13], s[14:15], 12
	v_mov_b32_e32 v3, s13
	v_add_co_u32_e32 v12, vcc, s12, v8
	s_movk_i32 s12, 0xff1f
	v_addc_co_u32_e32 v13, vcc, v9, v3, vcc
	v_and_or_b32 v0, v0, s12, 32
	s_mov_b32 s12, 0
	v_mov_b32_e32 v3, v2
	v_readfirstlane_b32 s16, v12
	v_readfirstlane_b32 s17, v13
	s_mov_b32 s13, s12
	v_add_co_u32_e32 v8, vcc, v12, v36
	s_mov_b32 s14, s12
	s_mov_b32 s15, s12
	s_nop 0
	global_store_dwordx4 v36, v[0:3], s[16:17]
	v_addc_co_u32_e32 v9, vcc, 0, v13, vcc
	v_pk_mov_b32 v[0:1], s[12:13], s[12:13] op_sel:[0,1]
	v_pk_mov_b32 v[2:3], s[14:15], s[14:15] op_sel:[0,1]
	global_store_dwordx4 v36, v[0:3], s[16:17] offset:16
	global_store_dwordx4 v36, v[0:3], s[16:17] offset:32
	;; [unrolled: 1-line block ×3, first 2 shown]
	s_and_saveexec_b64 s[12:13], s[4:5]
	s_cbranch_execz .LBB22_242
; %bb.235:
	v_mov_b32_e32 v12, 0
	global_load_dwordx2 v[16:17], v12, s[10:11] offset:32 glc
	global_load_dwordx2 v[0:1], v12, s[10:11] offset:40
	v_mov_b32_e32 v14, s6
	v_mov_b32_e32 v15, s7
	s_waitcnt vmcnt(0)
	v_readfirstlane_b32 s14, v0
	v_readfirstlane_b32 s15, v1
	s_and_b64 s[14:15], s[14:15], s[6:7]
	s_mul_i32 s15, s15, 24
	s_mul_hi_u32 s16, s14, 24
	s_mul_i32 s14, s14, 24
	s_add_i32 s15, s16, s15
	v_mov_b32_e32 v0, s15
	v_add_co_u32_e32 v6, vcc, s14, v6
	v_addc_co_u32_e32 v7, vcc, v7, v0, vcc
	global_store_dwordx2 v[6:7], v[16:17], off
	buffer_wbl2
	s_waitcnt vmcnt(0)
	global_atomic_cmpswap_x2 v[2:3], v12, v[14:17], s[10:11] offset:32 glc
	s_waitcnt vmcnt(0)
	v_cmp_ne_u64_e32 vcc, v[2:3], v[16:17]
	s_and_saveexec_b64 s[14:15], vcc
	s_cbranch_execz .LBB22_238
; %bb.236:
	s_mov_b64 s[16:17], 0
.LBB22_237:                             ; =>This Inner Loop Header: Depth=1
	s_sleep 1
	global_store_dwordx2 v[6:7], v[2:3], off
	v_mov_b32_e32 v0, s6
	v_mov_b32_e32 v1, s7
	buffer_wbl2
	s_waitcnt vmcnt(0)
	global_atomic_cmpswap_x2 v[0:1], v12, v[0:3], s[10:11] offset:32 glc
	s_waitcnt vmcnt(0)
	v_cmp_eq_u64_e32 vcc, v[0:1], v[2:3]
	s_or_b64 s[16:17], vcc, s[16:17]
	v_pk_mov_b32 v[2:3], v[0:1], v[0:1] op_sel:[0,1]
	s_andn2_b64 exec, exec, s[16:17]
	s_cbranch_execnz .LBB22_237
.LBB22_238:
	s_or_b64 exec, exec, s[14:15]
	v_mov_b32_e32 v3, 0
	global_load_dwordx2 v[0:1], v3, s[10:11] offset:16
	s_mov_b64 s[14:15], exec
	v_mbcnt_lo_u32_b32 v2, s14, 0
	v_mbcnt_hi_u32_b32 v2, s15, v2
	v_cmp_eq_u32_e32 vcc, 0, v2
	s_and_saveexec_b64 s[16:17], vcc
	s_cbranch_execz .LBB22_240
; %bb.239:
	s_bcnt1_i32_b64 s14, s[14:15]
	v_mov_b32_e32 v2, s14
	buffer_wbl2
	s_waitcnt vmcnt(0)
	global_atomic_add_x2 v[0:1], v[2:3], off offset:8
.LBB22_240:
	s_or_b64 exec, exec, s[16:17]
	s_waitcnt vmcnt(0)
	global_load_dwordx2 v[2:3], v[0:1], off offset:16
	s_waitcnt vmcnt(0)
	v_cmp_eq_u64_e32 vcc, 0, v[2:3]
	s_cbranch_vccnz .LBB22_242
; %bb.241:
	global_load_dword v0, v[0:1], off offset:24
	v_mov_b32_e32 v1, 0
	buffer_wbl2
	s_waitcnt vmcnt(0)
	global_store_dwordx2 v[2:3], v[0:1], off
	v_and_b32_e32 v0, 0xffffff, v0
	v_readfirstlane_b32 m0, v0
	s_sendmsg sendmsg(MSG_INTERRUPT)
.LBB22_242:
	s_or_b64 exec, exec, s[12:13]
	s_branch .LBB22_246
.LBB22_243:                             ;   in Loop: Header=BB22_246 Depth=1
	s_or_b64 exec, exec, s[12:13]
	v_readfirstlane_b32 s12, v0
	s_cmp_eq_u32 s12, 0
	s_cbranch_scc1 .LBB22_245
; %bb.244:                              ;   in Loop: Header=BB22_246 Depth=1
	s_sleep 1
	s_cbranch_execnz .LBB22_246
	s_branch .LBB22_248
.LBB22_245:
	s_branch .LBB22_248
.LBB22_246:                             ; =>This Inner Loop Header: Depth=1
	v_mov_b32_e32 v0, 1
	s_and_saveexec_b64 s[12:13], s[4:5]
	s_cbranch_execz .LBB22_243
; %bb.247:                              ;   in Loop: Header=BB22_246 Depth=1
	global_load_dword v0, v[10:11], off offset:20 glc
	s_waitcnt vmcnt(0)
	buffer_invl2
	buffer_wbinvl1_vol
	v_and_b32_e32 v0, 1, v0
	s_branch .LBB22_243
.LBB22_248:
	global_load_dwordx2 v[6:7], v[8:9], off
	s_and_saveexec_b64 s[12:13], s[4:5]
	s_cbranch_execz .LBB22_251
; %bb.249:
	v_mov_b32_e32 v10, 0
	global_load_dwordx2 v[8:9], v10, s[10:11] offset:40
	global_load_dwordx2 v[12:13], v10, s[10:11] offset:24 glc
	global_load_dwordx2 v[14:15], v10, s[10:11]
	v_mov_b32_e32 v1, s7
	s_mov_b64 s[4:5], 0
	s_waitcnt vmcnt(2)
	v_add_co_u32_e32 v3, vcc, 1, v8
	v_addc_co_u32_e32 v11, vcc, 0, v9, vcc
	v_add_co_u32_e32 v0, vcc, s6, v3
	v_addc_co_u32_e32 v1, vcc, v11, v1, vcc
	v_cmp_eq_u64_e32 vcc, 0, v[0:1]
	v_cndmask_b32_e32 v1, v1, v11, vcc
	v_cndmask_b32_e32 v0, v0, v3, vcc
	v_and_b32_e32 v3, v1, v9
	v_and_b32_e32 v8, v0, v8
	v_mul_lo_u32 v3, v3, 24
	v_mul_hi_u32 v9, v8, 24
	v_mul_lo_u32 v8, v8, 24
	v_add_u32_e32 v3, v9, v3
	s_waitcnt vmcnt(0)
	v_add_co_u32_e32 v8, vcc, v14, v8
	v_addc_co_u32_e32 v9, vcc, v15, v3, vcc
	v_mov_b32_e32 v2, v12
	global_store_dwordx2 v[8:9], v[12:13], off
	v_mov_b32_e32 v3, v13
	buffer_wbl2
	s_waitcnt vmcnt(0)
	global_atomic_cmpswap_x2 v[2:3], v10, v[0:3], s[10:11] offset:24 glc
	s_waitcnt vmcnt(0)
	v_cmp_ne_u64_e32 vcc, v[2:3], v[12:13]
	s_and_b64 exec, exec, vcc
	s_cbranch_execz .LBB22_251
.LBB22_250:                             ; =>This Inner Loop Header: Depth=1
	s_sleep 1
	global_store_dwordx2 v[8:9], v[2:3], off
	buffer_wbl2
	s_waitcnt vmcnt(0)
	global_atomic_cmpswap_x2 v[12:13], v10, v[0:3], s[10:11] offset:24 glc
	s_waitcnt vmcnt(0)
	v_cmp_eq_u64_e32 vcc, v[12:13], v[2:3]
	s_or_b64 s[4:5], vcc, s[4:5]
	v_pk_mov_b32 v[2:3], v[12:13], v[12:13] op_sel:[0,1]
	s_andn2_b64 exec, exec, s[4:5]
	s_cbranch_execnz .LBB22_250
.LBB22_251:
	s_or_b64 exec, exec, s[12:13]
.LBB22_252:
	v_readfirstlane_b32 s4, v37
	v_cmp_eq_u32_e64 s[4:5], s4, v37
	v_pk_mov_b32 v[10:11], 0, 0
	s_and_saveexec_b64 s[6:7], s[4:5]
	s_cbranch_execz .LBB22_258
; %bb.253:
	s_waitcnt vmcnt(0)
	v_mov_b32_e32 v0, 0
	global_load_dwordx2 v[12:13], v0, s[10:11] offset:24 glc
	s_waitcnt vmcnt(0)
	buffer_invl2
	buffer_wbinvl1_vol
	global_load_dwordx2 v[2:3], v0, s[10:11] offset:40
	global_load_dwordx2 v[8:9], v0, s[10:11]
	s_waitcnt vmcnt(1)
	v_and_b32_e32 v1, v2, v12
	v_and_b32_e32 v2, v3, v13
	v_mul_lo_u32 v2, v2, 24
	v_mul_hi_u32 v3, v1, 24
	v_mul_lo_u32 v1, v1, 24
	v_add_u32_e32 v3, v3, v2
	s_waitcnt vmcnt(0)
	v_add_co_u32_e32 v2, vcc, v8, v1
	v_addc_co_u32_e32 v3, vcc, v9, v3, vcc
	global_load_dwordx2 v[10:11], v[2:3], off glc
	s_waitcnt vmcnt(0)
	global_atomic_cmpswap_x2 v[10:11], v0, v[10:13], s[10:11] offset:24 glc
	s_waitcnt vmcnt(0)
	buffer_invl2
	buffer_wbinvl1_vol
	v_cmp_ne_u64_e32 vcc, v[10:11], v[12:13]
	s_and_saveexec_b64 s[12:13], vcc
	s_cbranch_execz .LBB22_257
; %bb.254:
	s_mov_b64 s[14:15], 0
.LBB22_255:                             ; =>This Inner Loop Header: Depth=1
	s_sleep 1
	global_load_dwordx2 v[2:3], v0, s[10:11] offset:40
	global_load_dwordx2 v[8:9], v0, s[10:11]
	v_pk_mov_b32 v[12:13], v[10:11], v[10:11] op_sel:[0,1]
	s_waitcnt vmcnt(1)
	v_and_b32_e32 v2, v2, v12
	v_and_b32_e32 v1, v3, v13
	s_waitcnt vmcnt(0)
	v_mad_u64_u32 v[2:3], s[16:17], v2, 24, v[8:9]
	v_mov_b32_e32 v8, v3
	v_mad_u64_u32 v[8:9], s[16:17], v1, 24, v[8:9]
	v_mov_b32_e32 v3, v8
	global_load_dwordx2 v[10:11], v[2:3], off glc
	s_waitcnt vmcnt(0)
	global_atomic_cmpswap_x2 v[10:11], v0, v[10:13], s[10:11] offset:24 glc
	s_waitcnt vmcnt(0)
	buffer_invl2
	buffer_wbinvl1_vol
	v_cmp_eq_u64_e32 vcc, v[10:11], v[12:13]
	s_or_b64 s[14:15], vcc, s[14:15]
	s_andn2_b64 exec, exec, s[14:15]
	s_cbranch_execnz .LBB22_255
; %bb.256:
	s_or_b64 exec, exec, s[14:15]
.LBB22_257:
	s_or_b64 exec, exec, s[12:13]
.LBB22_258:
	s_or_b64 exec, exec, s[6:7]
	s_waitcnt vmcnt(0)
	v_mov_b32_e32 v9, 0
	global_load_dwordx2 v[12:13], v9, s[10:11] offset:40
	global_load_dwordx4 v[0:3], v9, s[10:11]
	v_readfirstlane_b32 s6, v10
	v_readfirstlane_b32 s7, v11
	s_mov_b64 s[12:13], exec
	s_waitcnt vmcnt(1)
	v_readfirstlane_b32 s14, v12
	v_readfirstlane_b32 s15, v13
	s_and_b64 s[14:15], s[6:7], s[14:15]
	s_mul_i32 s16, s15, 24
	s_mul_hi_u32 s17, s14, 24
	s_mul_i32 s18, s14, 24
	s_add_i32 s16, s17, s16
	v_mov_b32_e32 v8, s16
	s_waitcnt vmcnt(0)
	v_add_co_u32_e32 v10, vcc, s18, v0
	v_addc_co_u32_e32 v11, vcc, v1, v8, vcc
	s_and_saveexec_b64 s[16:17], s[4:5]
	s_cbranch_execz .LBB22_260
; %bb.259:
	v_pk_mov_b32 v[12:13], s[12:13], s[12:13] op_sel:[0,1]
	v_mov_b32_e32 v14, 2
	v_mov_b32_e32 v15, 1
	global_store_dwordx4 v[10:11], v[12:15], off offset:8
.LBB22_260:
	s_or_b64 exec, exec, s[16:17]
	s_lshl_b64 s[12:13], s[14:15], 12
	v_mov_b32_e32 v8, s13
	v_add_co_u32_e32 v2, vcc, s12, v2
	s_movk_i32 s12, 0xff1f
	v_addc_co_u32_e32 v3, vcc, v3, v8, vcc
	v_and_or_b32 v6, v6, s12, 32
	s_mov_b32 s12, 0
	v_mov_b32_e32 v8, 0xb0
	v_readfirstlane_b32 s16, v2
	v_readfirstlane_b32 s17, v3
	s_mov_b32 s13, s12
	v_add_co_u32_e32 v12, vcc, v2, v36
	s_mov_b32 s14, s12
	s_mov_b32 s15, s12
	s_nop 0
	global_store_dwordx4 v36, v[6:9], s[16:17]
	v_addc_co_u32_e32 v13, vcc, 0, v3, vcc
	v_pk_mov_b32 v[6:7], s[12:13], s[12:13] op_sel:[0,1]
	v_pk_mov_b32 v[8:9], s[14:15], s[14:15] op_sel:[0,1]
	global_store_dwordx4 v36, v[6:9], s[16:17] offset:16
	global_store_dwordx4 v36, v[6:9], s[16:17] offset:32
	;; [unrolled: 1-line block ×3, first 2 shown]
	s_and_saveexec_b64 s[12:13], s[4:5]
	s_cbranch_execz .LBB22_268
; %bb.261:
	v_mov_b32_e32 v8, 0
	global_load_dwordx2 v[16:17], v8, s[10:11] offset:32 glc
	global_load_dwordx2 v[2:3], v8, s[10:11] offset:40
	v_mov_b32_e32 v14, s6
	v_mov_b32_e32 v15, s7
	s_waitcnt vmcnt(0)
	v_readfirstlane_b32 s14, v2
	v_readfirstlane_b32 s15, v3
	s_and_b64 s[14:15], s[14:15], s[6:7]
	s_mul_i32 s15, s15, 24
	s_mul_hi_u32 s16, s14, 24
	s_mul_i32 s14, s14, 24
	s_add_i32 s15, s16, s15
	v_mov_b32_e32 v2, s15
	v_add_co_u32_e32 v6, vcc, s14, v0
	v_addc_co_u32_e32 v7, vcc, v1, v2, vcc
	global_store_dwordx2 v[6:7], v[16:17], off
	buffer_wbl2
	s_waitcnt vmcnt(0)
	global_atomic_cmpswap_x2 v[2:3], v8, v[14:17], s[10:11] offset:32 glc
	s_waitcnt vmcnt(0)
	v_cmp_ne_u64_e32 vcc, v[2:3], v[16:17]
	s_and_saveexec_b64 s[14:15], vcc
	s_cbranch_execz .LBB22_264
; %bb.262:
	s_mov_b64 s[16:17], 0
.LBB22_263:                             ; =>This Inner Loop Header: Depth=1
	s_sleep 1
	global_store_dwordx2 v[6:7], v[2:3], off
	v_mov_b32_e32 v0, s6
	v_mov_b32_e32 v1, s7
	buffer_wbl2
	s_waitcnt vmcnt(0)
	global_atomic_cmpswap_x2 v[0:1], v8, v[0:3], s[10:11] offset:32 glc
	s_waitcnt vmcnt(0)
	v_cmp_eq_u64_e32 vcc, v[0:1], v[2:3]
	s_or_b64 s[16:17], vcc, s[16:17]
	v_pk_mov_b32 v[2:3], v[0:1], v[0:1] op_sel:[0,1]
	s_andn2_b64 exec, exec, s[16:17]
	s_cbranch_execnz .LBB22_263
.LBB22_264:
	s_or_b64 exec, exec, s[14:15]
	v_mov_b32_e32 v3, 0
	global_load_dwordx2 v[0:1], v3, s[10:11] offset:16
	s_mov_b64 s[14:15], exec
	v_mbcnt_lo_u32_b32 v2, s14, 0
	v_mbcnt_hi_u32_b32 v2, s15, v2
	v_cmp_eq_u32_e32 vcc, 0, v2
	s_and_saveexec_b64 s[16:17], vcc
	s_cbranch_execz .LBB22_266
; %bb.265:
	s_bcnt1_i32_b64 s14, s[14:15]
	v_mov_b32_e32 v2, s14
	buffer_wbl2
	s_waitcnt vmcnt(0)
	global_atomic_add_x2 v[0:1], v[2:3], off offset:8
.LBB22_266:
	s_or_b64 exec, exec, s[16:17]
	s_waitcnt vmcnt(0)
	global_load_dwordx2 v[2:3], v[0:1], off offset:16
	s_waitcnt vmcnt(0)
	v_cmp_eq_u64_e32 vcc, 0, v[2:3]
	s_cbranch_vccnz .LBB22_268
; %bb.267:
	global_load_dword v0, v[0:1], off offset:24
	v_mov_b32_e32 v1, 0
	buffer_wbl2
	s_waitcnt vmcnt(0)
	global_store_dwordx2 v[2:3], v[0:1], off
	v_and_b32_e32 v0, 0xffffff, v0
	v_readfirstlane_b32 m0, v0
	s_sendmsg sendmsg(MSG_INTERRUPT)
.LBB22_268:
	s_or_b64 exec, exec, s[12:13]
	s_branch .LBB22_272
.LBB22_269:                             ;   in Loop: Header=BB22_272 Depth=1
	s_or_b64 exec, exec, s[12:13]
	v_readfirstlane_b32 s12, v0
	s_cmp_eq_u32 s12, 0
	s_cbranch_scc1 .LBB22_271
; %bb.270:                              ;   in Loop: Header=BB22_272 Depth=1
	s_sleep 1
	s_cbranch_execnz .LBB22_272
	s_branch .LBB22_274
.LBB22_271:
	s_branch .LBB22_274
.LBB22_272:                             ; =>This Inner Loop Header: Depth=1
	v_mov_b32_e32 v0, 1
	s_and_saveexec_b64 s[12:13], s[4:5]
	s_cbranch_execz .LBB22_269
; %bb.273:                              ;   in Loop: Header=BB22_272 Depth=1
	global_load_dword v0, v[10:11], off offset:20 glc
	s_waitcnt vmcnt(0)
	buffer_invl2
	buffer_wbinvl1_vol
	v_and_b32_e32 v0, 1, v0
	s_branch .LBB22_269
.LBB22_274:
	global_load_dwordx2 v[0:1], v[12:13], off
	s_and_saveexec_b64 s[12:13], s[4:5]
	s_cbranch_execz .LBB22_277
; %bb.275:
	v_mov_b32_e32 v10, 0
	global_load_dwordx2 v[2:3], v10, s[10:11] offset:40
	global_load_dwordx2 v[12:13], v10, s[10:11] offset:24 glc
	global_load_dwordx2 v[14:15], v10, s[10:11]
	v_mov_b32_e32 v7, s7
	s_mov_b64 s[4:5], 0
	s_waitcnt vmcnt(2)
	v_add_co_u32_e32 v9, vcc, 1, v2
	v_addc_co_u32_e32 v11, vcc, 0, v3, vcc
	v_add_co_u32_e32 v6, vcc, s6, v9
	v_addc_co_u32_e32 v7, vcc, v11, v7, vcc
	v_cmp_eq_u64_e32 vcc, 0, v[6:7]
	v_cndmask_b32_e32 v7, v7, v11, vcc
	v_cndmask_b32_e32 v6, v6, v9, vcc
	v_and_b32_e32 v3, v7, v3
	v_and_b32_e32 v2, v6, v2
	v_mul_lo_u32 v3, v3, 24
	v_mul_hi_u32 v9, v2, 24
	v_mul_lo_u32 v2, v2, 24
	v_add_u32_e32 v3, v9, v3
	s_waitcnt vmcnt(0)
	v_add_co_u32_e32 v2, vcc, v14, v2
	v_addc_co_u32_e32 v3, vcc, v15, v3, vcc
	v_mov_b32_e32 v8, v12
	global_store_dwordx2 v[2:3], v[12:13], off
	v_mov_b32_e32 v9, v13
	buffer_wbl2
	s_waitcnt vmcnt(0)
	global_atomic_cmpswap_x2 v[8:9], v10, v[6:9], s[10:11] offset:24 glc
	s_waitcnt vmcnt(0)
	v_cmp_ne_u64_e32 vcc, v[8:9], v[12:13]
	s_and_b64 exec, exec, vcc
	s_cbranch_execz .LBB22_277
.LBB22_276:                             ; =>This Inner Loop Header: Depth=1
	s_sleep 1
	global_store_dwordx2 v[2:3], v[8:9], off
	buffer_wbl2
	s_waitcnt vmcnt(0)
	global_atomic_cmpswap_x2 v[12:13], v10, v[6:9], s[10:11] offset:24 glc
	s_waitcnt vmcnt(0)
	v_cmp_eq_u64_e32 vcc, v[12:13], v[8:9]
	s_or_b64 s[4:5], vcc, s[4:5]
	v_pk_mov_b32 v[8:9], v[12:13], v[12:13] op_sel:[0,1]
	s_andn2_b64 exec, exec, s[4:5]
	s_cbranch_execnz .LBB22_276
.LBB22_277:
	s_or_b64 exec, exec, s[12:13]
	s_mov_b64 s[4:5], 0
	v_pk_mov_b32 v[6:7], v[4:5], v[4:5] op_sel:[0,1]
.LBB22_278:                             ; =>This Inner Loop Header: Depth=1
	flat_load_ubyte v8, v[6:7]
	v_add_co_u32_e32 v2, vcc, 1, v6
	v_addc_co_u32_e32 v3, vcc, 0, v7, vcc
	v_pk_mov_b32 v[6:7], v[2:3], v[2:3] op_sel:[0,1]
	s_waitcnt vmcnt(0) lgkmcnt(0)
	v_cmp_eq_u16_e32 vcc, 0, v8
	s_or_b64 s[4:5], vcc, s[4:5]
	s_andn2_b64 exec, exec, s[4:5]
	s_cbranch_execnz .LBB22_278
; %bb.279:
	s_or_b64 exec, exec, s[4:5]
	s_mov_b64 s[6:7], 0
	v_cmp_ne_u64_e32 vcc, 0, v[4:5]
	s_and_saveexec_b64 s[4:5], vcc
	s_xor_b64 s[12:13], exec, s[4:5]
	s_cbranch_execz .LBB22_365
; %bb.280:
	v_sub_u32_e32 v26, v2, v4
	v_ashrrev_i32_e32 v27, 31, v26
	v_and_b32_e32 v28, 2, v0
	v_mov_b32_e32 v31, 0
	v_and_b32_e32 v0, -3, v0
	s_mov_b32 s22, 0
	s_movk_i32 s23, 0xff1f
	v_mov_b32_e32 v8, 2
	v_mov_b32_e32 v9, 1
	s_branch .LBB22_282
.LBB22_281:                             ;   in Loop: Header=BB22_282 Depth=1
	s_or_b64 exec, exec, s[16:17]
	v_sub_co_u32_e32 v26, vcc, v26, v32
	v_subb_co_u32_e32 v27, vcc, v27, v33, vcc
	v_cmp_eq_u64_e32 vcc, 0, v[26:27]
	s_or_b64 s[6:7], vcc, s[6:7]
	v_add_co_u32_e32 v4, vcc, v4, v32
	v_addc_co_u32_e32 v5, vcc, v5, v33, vcc
	s_andn2_b64 exec, exec, s[6:7]
	s_cbranch_execz .LBB22_364
.LBB22_282:                             ; =>This Loop Header: Depth=1
                                        ;     Child Loop BB22_285 Depth 2
                                        ;     Child Loop BB22_293 Depth 2
	;; [unrolled: 1-line block ×11, first 2 shown]
	v_cmp_gt_u64_e32 vcc, 56, v[26:27]
	v_cndmask_b32_e32 v33, 0, v27, vcc
	v_cndmask_b32_e32 v32, 56, v26, vcc
	v_cmp_gt_u64_e32 vcc, 8, v[26:27]
                                        ; implicit-def: $vgpr2_vgpr3
                                        ; implicit-def: $sgpr14
	s_and_saveexec_b64 s[4:5], vcc
	s_xor_b64 s[4:5], exec, s[4:5]
	s_cbranch_execz .LBB22_288
; %bb.283:                              ;   in Loop: Header=BB22_282 Depth=1
	s_mov_b64 s[16:17], 0
	v_cmp_ne_u64_e32 vcc, 0, v[26:27]
	s_waitcnt vmcnt(0)
	v_pk_mov_b32 v[2:3], 0, 0
	s_and_saveexec_b64 s[14:15], vcc
	s_cbranch_execz .LBB22_287
; %bb.284:                              ;   in Loop: Header=BB22_282 Depth=1
	v_lshlrev_b64 v[6:7], 3, v[32:33]
	v_pk_mov_b32 v[2:3], 0, 0
	v_pk_mov_b32 v[10:11], v[4:5], v[4:5] op_sel:[0,1]
	s_mov_b64 s[18:19], 0
.LBB22_285:                             ;   Parent Loop BB22_282 Depth=1
                                        ; =>  This Inner Loop Header: Depth=2
	flat_load_ubyte v7, v[10:11]
	v_mov_b32_e32 v13, s22
	v_add_co_u32_e32 v10, vcc, 1, v10
	v_addc_co_u32_e32 v11, vcc, 0, v11, vcc
	s_waitcnt vmcnt(0) lgkmcnt(0)
	v_and_b32_e32 v12, 0xffff, v7
	v_lshlrev_b64 v[12:13], s18, v[12:13]
	s_add_u32 s18, s18, 8
	s_addc_u32 s19, s19, 0
	v_cmp_eq_u32_e32 vcc, s18, v6
	v_or_b32_e32 v3, v13, v3
	s_or_b64 s[16:17], vcc, s[16:17]
	v_or_b32_e32 v2, v12, v2
	s_andn2_b64 exec, exec, s[16:17]
	s_cbranch_execnz .LBB22_285
; %bb.286:                              ;   in Loop: Header=BB22_282 Depth=1
	s_or_b64 exec, exec, s[16:17]
.LBB22_287:                             ;   in Loop: Header=BB22_282 Depth=1
	s_or_b64 exec, exec, s[14:15]
	s_mov_b32 s14, 0
.LBB22_288:                             ;   in Loop: Header=BB22_282 Depth=1
	s_or_saveexec_b64 s[4:5], s[4:5]
	v_mov_b32_e32 v12, s14
	v_pk_mov_b32 v[6:7], v[4:5], v[4:5] op_sel:[0,1]
	s_xor_b64 exec, exec, s[4:5]
	s_cbranch_execz .LBB22_290
; %bb.289:                              ;   in Loop: Header=BB22_282 Depth=1
	s_waitcnt vmcnt(0)
	flat_load_dwordx2 v[2:3], v[4:5]
	v_add_u32_e32 v12, -8, v32
	s_waitcnt vmcnt(0) lgkmcnt(0)
	v_and_b32_e32 v6, 0xff, v3
	v_and_b32_e32 v7, 0xff00, v3
	;; [unrolled: 1-line block ×4, first 2 shown]
	v_or_b32_e32 v6, v6, v7
	v_or3_b32 v3, v6, v10, v3
	v_add_co_u32_e32 v6, vcc, 8, v4
	v_or3_b32 v2, v2, 0, 0
	v_addc_co_u32_e32 v7, vcc, 0, v5, vcc
.LBB22_290:                             ;   in Loop: Header=BB22_282 Depth=1
	s_or_b64 exec, exec, s[4:5]
	v_cmp_gt_u32_e32 vcc, 8, v12
                                        ; implicit-def: $vgpr10_vgpr11
                                        ; implicit-def: $sgpr14
	s_and_saveexec_b64 s[4:5], vcc
	s_xor_b64 s[4:5], exec, s[4:5]
	s_cbranch_execz .LBB22_296
; %bb.291:                              ;   in Loop: Header=BB22_282 Depth=1
	v_cmp_ne_u32_e32 vcc, 0, v12
	v_pk_mov_b32 v[10:11], 0, 0
	s_and_saveexec_b64 s[14:15], vcc
	s_cbranch_execz .LBB22_295
; %bb.292:                              ;   in Loop: Header=BB22_282 Depth=1
	s_mov_b64 s[16:17], 0
	v_pk_mov_b32 v[10:11], 0, 0
	s_mov_b64 s[18:19], 0
	s_mov_b64 s[20:21], 0
.LBB22_293:                             ;   Parent Loop BB22_282 Depth=1
                                        ; =>  This Inner Loop Header: Depth=2
	v_mov_b32_e32 v13, s21
	v_add_co_u32_e32 v14, vcc, s20, v6
	v_addc_co_u32_e32 v15, vcc, v7, v13, vcc
	flat_load_ubyte v13, v[14:15]
	s_add_u32 s20, s20, 1
	v_mov_b32_e32 v15, s22
	s_addc_u32 s21, s21, 0
	v_cmp_eq_u32_e32 vcc, s20, v12
	s_waitcnt vmcnt(0) lgkmcnt(0)
	v_and_b32_e32 v14, 0xffff, v13
	v_lshlrev_b64 v[14:15], s18, v[14:15]
	s_add_u32 s18, s18, 8
	s_addc_u32 s19, s19, 0
	v_or_b32_e32 v11, v15, v11
	s_or_b64 s[16:17], vcc, s[16:17]
	v_or_b32_e32 v10, v14, v10
	s_andn2_b64 exec, exec, s[16:17]
	s_cbranch_execnz .LBB22_293
; %bb.294:                              ;   in Loop: Header=BB22_282 Depth=1
	s_or_b64 exec, exec, s[16:17]
.LBB22_295:                             ;   in Loop: Header=BB22_282 Depth=1
	s_or_b64 exec, exec, s[14:15]
	s_mov_b32 s14, 0
                                        ; implicit-def: $vgpr12
.LBB22_296:                             ;   in Loop: Header=BB22_282 Depth=1
	s_or_saveexec_b64 s[4:5], s[4:5]
	v_mov_b32_e32 v14, s14
	s_xor_b64 exec, exec, s[4:5]
	s_cbranch_execz .LBB22_298
; %bb.297:                              ;   in Loop: Header=BB22_282 Depth=1
	flat_load_dwordx2 v[10:11], v[6:7]
	v_add_u32_e32 v14, -8, v12
	v_add_co_u32_e32 v6, vcc, 8, v6
	v_addc_co_u32_e32 v7, vcc, 0, v7, vcc
	s_waitcnt vmcnt(0) lgkmcnt(0)
	v_and_b32_e32 v12, 0xff, v11
	v_and_b32_e32 v13, 0xff00, v11
	;; [unrolled: 1-line block ×4, first 2 shown]
	v_or_b32_e32 v12, v12, v13
	v_or3_b32 v10, v10, 0, 0
	v_or3_b32 v11, v12, v15, v11
.LBB22_298:                             ;   in Loop: Header=BB22_282 Depth=1
	s_or_b64 exec, exec, s[4:5]
	v_cmp_gt_u32_e32 vcc, 8, v14
                                        ; implicit-def: $sgpr14
	s_and_saveexec_b64 s[4:5], vcc
	s_xor_b64 s[4:5], exec, s[4:5]
	s_cbranch_execz .LBB22_304
; %bb.299:                              ;   in Loop: Header=BB22_282 Depth=1
	v_cmp_ne_u32_e32 vcc, 0, v14
	v_pk_mov_b32 v[12:13], 0, 0
	s_and_saveexec_b64 s[14:15], vcc
	s_cbranch_execz .LBB22_303
; %bb.300:                              ;   in Loop: Header=BB22_282 Depth=1
	s_mov_b64 s[16:17], 0
	v_pk_mov_b32 v[12:13], 0, 0
	s_mov_b64 s[18:19], 0
	s_mov_b64 s[20:21], 0
.LBB22_301:                             ;   Parent Loop BB22_282 Depth=1
                                        ; =>  This Inner Loop Header: Depth=2
	v_mov_b32_e32 v15, s21
	v_add_co_u32_e32 v16, vcc, s20, v6
	v_addc_co_u32_e32 v17, vcc, v7, v15, vcc
	flat_load_ubyte v15, v[16:17]
	s_add_u32 s20, s20, 1
	v_mov_b32_e32 v17, s22
	s_addc_u32 s21, s21, 0
	v_cmp_eq_u32_e32 vcc, s20, v14
	s_waitcnt vmcnt(0) lgkmcnt(0)
	v_and_b32_e32 v16, 0xffff, v15
	v_lshlrev_b64 v[16:17], s18, v[16:17]
	s_add_u32 s18, s18, 8
	s_addc_u32 s19, s19, 0
	v_or_b32_e32 v13, v17, v13
	s_or_b64 s[16:17], vcc, s[16:17]
	v_or_b32_e32 v12, v16, v12
	s_andn2_b64 exec, exec, s[16:17]
	s_cbranch_execnz .LBB22_301
; %bb.302:                              ;   in Loop: Header=BB22_282 Depth=1
	s_or_b64 exec, exec, s[16:17]
.LBB22_303:                             ;   in Loop: Header=BB22_282 Depth=1
	s_or_b64 exec, exec, s[14:15]
	s_mov_b32 s14, 0
                                        ; implicit-def: $vgpr14
.LBB22_304:                             ;   in Loop: Header=BB22_282 Depth=1
	s_or_saveexec_b64 s[4:5], s[4:5]
	v_mov_b32_e32 v16, s14
	s_xor_b64 exec, exec, s[4:5]
	s_cbranch_execz .LBB22_306
; %bb.305:                              ;   in Loop: Header=BB22_282 Depth=1
	flat_load_dwordx2 v[12:13], v[6:7]
	v_add_u32_e32 v16, -8, v14
	v_add_co_u32_e32 v6, vcc, 8, v6
	v_addc_co_u32_e32 v7, vcc, 0, v7, vcc
	s_waitcnt vmcnt(0) lgkmcnt(0)
	v_and_b32_e32 v14, 0xff, v13
	v_and_b32_e32 v15, 0xff00, v13
	v_and_b32_e32 v17, 0xff0000, v13
	v_and_b32_e32 v13, 0xff000000, v13
	v_or_b32_e32 v14, v14, v15
	v_or3_b32 v12, v12, 0, 0
	v_or3_b32 v13, v14, v17, v13
.LBB22_306:                             ;   in Loop: Header=BB22_282 Depth=1
	s_or_b64 exec, exec, s[4:5]
	v_cmp_gt_u32_e32 vcc, 8, v16
                                        ; implicit-def: $vgpr14_vgpr15
                                        ; implicit-def: $sgpr14
	s_and_saveexec_b64 s[4:5], vcc
	s_xor_b64 s[4:5], exec, s[4:5]
	s_cbranch_execz .LBB22_312
; %bb.307:                              ;   in Loop: Header=BB22_282 Depth=1
	v_cmp_ne_u32_e32 vcc, 0, v16
	v_pk_mov_b32 v[14:15], 0, 0
	s_and_saveexec_b64 s[14:15], vcc
	s_cbranch_execz .LBB22_311
; %bb.308:                              ;   in Loop: Header=BB22_282 Depth=1
	s_mov_b64 s[16:17], 0
	v_pk_mov_b32 v[14:15], 0, 0
	s_mov_b64 s[18:19], 0
	s_mov_b64 s[20:21], 0
.LBB22_309:                             ;   Parent Loop BB22_282 Depth=1
                                        ; =>  This Inner Loop Header: Depth=2
	v_mov_b32_e32 v17, s21
	v_add_co_u32_e32 v18, vcc, s20, v6
	v_addc_co_u32_e32 v19, vcc, v7, v17, vcc
	flat_load_ubyte v17, v[18:19]
	s_add_u32 s20, s20, 1
	v_mov_b32_e32 v19, s22
	s_addc_u32 s21, s21, 0
	v_cmp_eq_u32_e32 vcc, s20, v16
	s_waitcnt vmcnt(0) lgkmcnt(0)
	v_and_b32_e32 v18, 0xffff, v17
	v_lshlrev_b64 v[18:19], s18, v[18:19]
	s_add_u32 s18, s18, 8
	s_addc_u32 s19, s19, 0
	v_or_b32_e32 v15, v19, v15
	s_or_b64 s[16:17], vcc, s[16:17]
	v_or_b32_e32 v14, v18, v14
	s_andn2_b64 exec, exec, s[16:17]
	s_cbranch_execnz .LBB22_309
; %bb.310:                              ;   in Loop: Header=BB22_282 Depth=1
	s_or_b64 exec, exec, s[16:17]
.LBB22_311:                             ;   in Loop: Header=BB22_282 Depth=1
	s_or_b64 exec, exec, s[14:15]
	s_mov_b32 s14, 0
                                        ; implicit-def: $vgpr16
.LBB22_312:                             ;   in Loop: Header=BB22_282 Depth=1
	s_or_saveexec_b64 s[4:5], s[4:5]
	v_mov_b32_e32 v18, s14
	s_xor_b64 exec, exec, s[4:5]
	s_cbranch_execz .LBB22_314
; %bb.313:                              ;   in Loop: Header=BB22_282 Depth=1
	flat_load_dwordx2 v[14:15], v[6:7]
	v_add_u32_e32 v18, -8, v16
	v_add_co_u32_e32 v6, vcc, 8, v6
	v_addc_co_u32_e32 v7, vcc, 0, v7, vcc
	s_waitcnt vmcnt(0) lgkmcnt(0)
	v_and_b32_e32 v16, 0xff, v15
	v_and_b32_e32 v17, 0xff00, v15
	;; [unrolled: 1-line block ×4, first 2 shown]
	v_or_b32_e32 v16, v16, v17
	v_or3_b32 v14, v14, 0, 0
	v_or3_b32 v15, v16, v19, v15
.LBB22_314:                             ;   in Loop: Header=BB22_282 Depth=1
	s_or_b64 exec, exec, s[4:5]
	v_cmp_gt_u32_e32 vcc, 8, v18
                                        ; implicit-def: $sgpr14
	s_and_saveexec_b64 s[4:5], vcc
	s_xor_b64 s[4:5], exec, s[4:5]
	s_cbranch_execz .LBB22_320
; %bb.315:                              ;   in Loop: Header=BB22_282 Depth=1
	v_cmp_ne_u32_e32 vcc, 0, v18
	v_pk_mov_b32 v[16:17], 0, 0
	s_and_saveexec_b64 s[14:15], vcc
	s_cbranch_execz .LBB22_319
; %bb.316:                              ;   in Loop: Header=BB22_282 Depth=1
	s_mov_b64 s[16:17], 0
	v_pk_mov_b32 v[16:17], 0, 0
	s_mov_b64 s[18:19], 0
	s_mov_b64 s[20:21], 0
.LBB22_317:                             ;   Parent Loop BB22_282 Depth=1
                                        ; =>  This Inner Loop Header: Depth=2
	v_mov_b32_e32 v19, s21
	v_add_co_u32_e32 v20, vcc, s20, v6
	v_addc_co_u32_e32 v21, vcc, v7, v19, vcc
	flat_load_ubyte v19, v[20:21]
	s_add_u32 s20, s20, 1
	v_mov_b32_e32 v21, s22
	s_addc_u32 s21, s21, 0
	v_cmp_eq_u32_e32 vcc, s20, v18
	s_waitcnt vmcnt(0) lgkmcnt(0)
	v_and_b32_e32 v20, 0xffff, v19
	v_lshlrev_b64 v[20:21], s18, v[20:21]
	s_add_u32 s18, s18, 8
	s_addc_u32 s19, s19, 0
	v_or_b32_e32 v17, v21, v17
	s_or_b64 s[16:17], vcc, s[16:17]
	v_or_b32_e32 v16, v20, v16
	s_andn2_b64 exec, exec, s[16:17]
	s_cbranch_execnz .LBB22_317
; %bb.318:                              ;   in Loop: Header=BB22_282 Depth=1
	s_or_b64 exec, exec, s[16:17]
.LBB22_319:                             ;   in Loop: Header=BB22_282 Depth=1
	s_or_b64 exec, exec, s[14:15]
	s_mov_b32 s14, 0
                                        ; implicit-def: $vgpr18
.LBB22_320:                             ;   in Loop: Header=BB22_282 Depth=1
	s_or_saveexec_b64 s[4:5], s[4:5]
	v_mov_b32_e32 v20, s14
	s_xor_b64 exec, exec, s[4:5]
	s_cbranch_execz .LBB22_322
; %bb.321:                              ;   in Loop: Header=BB22_282 Depth=1
	flat_load_dwordx2 v[16:17], v[6:7]
	v_add_u32_e32 v20, -8, v18
	v_add_co_u32_e32 v6, vcc, 8, v6
	v_addc_co_u32_e32 v7, vcc, 0, v7, vcc
	s_waitcnt vmcnt(0) lgkmcnt(0)
	v_and_b32_e32 v18, 0xff, v17
	v_and_b32_e32 v19, 0xff00, v17
	;; [unrolled: 1-line block ×4, first 2 shown]
	v_or_b32_e32 v18, v18, v19
	v_or3_b32 v16, v16, 0, 0
	v_or3_b32 v17, v18, v21, v17
.LBB22_322:                             ;   in Loop: Header=BB22_282 Depth=1
	s_or_b64 exec, exec, s[4:5]
	v_cmp_gt_u32_e32 vcc, 8, v20
                                        ; implicit-def: $vgpr18_vgpr19
                                        ; implicit-def: $sgpr14
	s_and_saveexec_b64 s[4:5], vcc
	s_xor_b64 s[4:5], exec, s[4:5]
	s_cbranch_execz .LBB22_328
; %bb.323:                              ;   in Loop: Header=BB22_282 Depth=1
	v_cmp_ne_u32_e32 vcc, 0, v20
	v_pk_mov_b32 v[18:19], 0, 0
	s_and_saveexec_b64 s[14:15], vcc
	s_cbranch_execz .LBB22_327
; %bb.324:                              ;   in Loop: Header=BB22_282 Depth=1
	s_mov_b64 s[16:17], 0
	v_pk_mov_b32 v[18:19], 0, 0
	s_mov_b64 s[18:19], 0
	s_mov_b64 s[20:21], 0
.LBB22_325:                             ;   Parent Loop BB22_282 Depth=1
                                        ; =>  This Inner Loop Header: Depth=2
	v_mov_b32_e32 v21, s21
	v_add_co_u32_e32 v22, vcc, s20, v6
	v_addc_co_u32_e32 v23, vcc, v7, v21, vcc
	flat_load_ubyte v21, v[22:23]
	s_add_u32 s20, s20, 1
	v_mov_b32_e32 v23, s22
	s_addc_u32 s21, s21, 0
	v_cmp_eq_u32_e32 vcc, s20, v20
	s_waitcnt vmcnt(0) lgkmcnt(0)
	v_and_b32_e32 v22, 0xffff, v21
	v_lshlrev_b64 v[22:23], s18, v[22:23]
	s_add_u32 s18, s18, 8
	s_addc_u32 s19, s19, 0
	v_or_b32_e32 v19, v23, v19
	s_or_b64 s[16:17], vcc, s[16:17]
	v_or_b32_e32 v18, v22, v18
	s_andn2_b64 exec, exec, s[16:17]
	s_cbranch_execnz .LBB22_325
; %bb.326:                              ;   in Loop: Header=BB22_282 Depth=1
	s_or_b64 exec, exec, s[16:17]
.LBB22_327:                             ;   in Loop: Header=BB22_282 Depth=1
	s_or_b64 exec, exec, s[14:15]
	s_mov_b32 s14, 0
                                        ; implicit-def: $vgpr20
.LBB22_328:                             ;   in Loop: Header=BB22_282 Depth=1
	s_or_saveexec_b64 s[4:5], s[4:5]
	v_mov_b32_e32 v22, s14
	s_xor_b64 exec, exec, s[4:5]
	s_cbranch_execz .LBB22_330
; %bb.329:                              ;   in Loop: Header=BB22_282 Depth=1
	flat_load_dwordx2 v[18:19], v[6:7]
	v_add_u32_e32 v22, -8, v20
	v_add_co_u32_e32 v6, vcc, 8, v6
	v_addc_co_u32_e32 v7, vcc, 0, v7, vcc
	s_waitcnt vmcnt(0) lgkmcnt(0)
	v_and_b32_e32 v20, 0xff, v19
	v_and_b32_e32 v21, 0xff00, v19
	;; [unrolled: 1-line block ×4, first 2 shown]
	v_or_b32_e32 v20, v20, v21
	v_or3_b32 v18, v18, 0, 0
	v_or3_b32 v19, v20, v23, v19
.LBB22_330:                             ;   in Loop: Header=BB22_282 Depth=1
	s_or_b64 exec, exec, s[4:5]
	v_cmp_gt_u32_e32 vcc, 8, v22
	s_and_saveexec_b64 s[4:5], vcc
	s_xor_b64 s[4:5], exec, s[4:5]
	s_cbranch_execz .LBB22_336
; %bb.331:                              ;   in Loop: Header=BB22_282 Depth=1
	v_cmp_ne_u32_e32 vcc, 0, v22
	v_pk_mov_b32 v[20:21], 0, 0
	s_and_saveexec_b64 s[14:15], vcc
	s_cbranch_execz .LBB22_335
; %bb.332:                              ;   in Loop: Header=BB22_282 Depth=1
	s_mov_b64 s[16:17], 0
	v_pk_mov_b32 v[20:21], 0, 0
	s_mov_b64 s[18:19], 0
.LBB22_333:                             ;   Parent Loop BB22_282 Depth=1
                                        ; =>  This Inner Loop Header: Depth=2
	flat_load_ubyte v23, v[6:7]
	v_mov_b32_e32 v25, s22
	v_add_co_u32_e32 v6, vcc, 1, v6
	v_add_u32_e32 v22, -1, v22
	v_addc_co_u32_e32 v7, vcc, 0, v7, vcc
	v_cmp_eq_u32_e32 vcc, 0, v22
	s_waitcnt vmcnt(0) lgkmcnt(0)
	v_and_b32_e32 v24, 0xffff, v23
	v_lshlrev_b64 v[24:25], s18, v[24:25]
	s_add_u32 s18, s18, 8
	s_addc_u32 s19, s19, 0
	v_or_b32_e32 v21, v25, v21
	s_or_b64 s[16:17], vcc, s[16:17]
	v_or_b32_e32 v20, v24, v20
	s_andn2_b64 exec, exec, s[16:17]
	s_cbranch_execnz .LBB22_333
; %bb.334:                              ;   in Loop: Header=BB22_282 Depth=1
	s_or_b64 exec, exec, s[16:17]
.LBB22_335:                             ;   in Loop: Header=BB22_282 Depth=1
	s_or_b64 exec, exec, s[14:15]
                                        ; implicit-def: $vgpr6_vgpr7
.LBB22_336:                             ;   in Loop: Header=BB22_282 Depth=1
	s_andn2_saveexec_b64 s[4:5], s[4:5]
	s_cbranch_execz .LBB22_338
; %bb.337:                              ;   in Loop: Header=BB22_282 Depth=1
	flat_load_dwordx2 v[6:7], v[6:7]
	s_waitcnt vmcnt(0) lgkmcnt(0)
	v_and_b32_e32 v20, 0xff, v7
	v_and_b32_e32 v21, 0xff00, v7
	;; [unrolled: 1-line block ×4, first 2 shown]
	v_or_b32_e32 v20, v20, v21
	v_or3_b32 v21, v20, v22, v7
	v_or3_b32 v20, v6, 0, 0
.LBB22_338:                             ;   in Loop: Header=BB22_282 Depth=1
	s_or_b64 exec, exec, s[4:5]
	v_readfirstlane_b32 s4, v37
	v_cmp_eq_u32_e64 s[4:5], s4, v37
	v_pk_mov_b32 v[6:7], 0, 0
	s_and_saveexec_b64 s[14:15], s[4:5]
	s_cbranch_execz .LBB22_344
; %bb.339:                              ;   in Loop: Header=BB22_282 Depth=1
	global_load_dwordx2 v[24:25], v31, s[10:11] offset:24 glc
	s_waitcnt vmcnt(0)
	buffer_invl2
	buffer_wbinvl1_vol
	global_load_dwordx2 v[6:7], v31, s[10:11] offset:40
	global_load_dwordx2 v[22:23], v31, s[10:11]
	s_waitcnt vmcnt(1)
	v_and_b32_e32 v6, v6, v24
	v_and_b32_e32 v7, v7, v25
	v_mul_lo_u32 v7, v7, 24
	v_mul_hi_u32 v29, v6, 24
	v_mul_lo_u32 v6, v6, 24
	v_add_u32_e32 v7, v29, v7
	s_waitcnt vmcnt(0)
	v_add_co_u32_e32 v6, vcc, v22, v6
	v_addc_co_u32_e32 v7, vcc, v23, v7, vcc
	global_load_dwordx2 v[22:23], v[6:7], off glc
	s_waitcnt vmcnt(0)
	global_atomic_cmpswap_x2 v[6:7], v31, v[22:25], s[10:11] offset:24 glc
	s_waitcnt vmcnt(0)
	buffer_invl2
	buffer_wbinvl1_vol
	v_cmp_ne_u64_e32 vcc, v[6:7], v[24:25]
	s_and_saveexec_b64 s[16:17], vcc
	s_cbranch_execz .LBB22_343
; %bb.340:                              ;   in Loop: Header=BB22_282 Depth=1
	s_mov_b64 s[18:19], 0
.LBB22_341:                             ;   Parent Loop BB22_282 Depth=1
                                        ; =>  This Inner Loop Header: Depth=2
	s_sleep 1
	global_load_dwordx2 v[22:23], v31, s[10:11] offset:40
	global_load_dwordx2 v[34:35], v31, s[10:11]
	v_pk_mov_b32 v[24:25], v[6:7], v[6:7] op_sel:[0,1]
	s_waitcnt vmcnt(1)
	v_and_b32_e32 v6, v22, v24
	s_waitcnt vmcnt(0)
	v_mad_u64_u32 v[6:7], s[20:21], v6, 24, v[34:35]
	v_and_b32_e32 v23, v23, v25
	v_mov_b32_e32 v22, v7
	v_mad_u64_u32 v[22:23], s[20:21], v23, 24, v[22:23]
	v_mov_b32_e32 v7, v22
	global_load_dwordx2 v[22:23], v[6:7], off glc
	s_waitcnt vmcnt(0)
	global_atomic_cmpswap_x2 v[6:7], v31, v[22:25], s[10:11] offset:24 glc
	s_waitcnt vmcnt(0)
	buffer_invl2
	buffer_wbinvl1_vol
	v_cmp_eq_u64_e32 vcc, v[6:7], v[24:25]
	s_or_b64 s[18:19], vcc, s[18:19]
	s_andn2_b64 exec, exec, s[18:19]
	s_cbranch_execnz .LBB22_341
; %bb.342:                              ;   in Loop: Header=BB22_282 Depth=1
	s_or_b64 exec, exec, s[18:19]
.LBB22_343:                             ;   in Loop: Header=BB22_282 Depth=1
	s_or_b64 exec, exec, s[16:17]
.LBB22_344:                             ;   in Loop: Header=BB22_282 Depth=1
	s_or_b64 exec, exec, s[14:15]
	global_load_dwordx2 v[34:35], v31, s[10:11] offset:40
	global_load_dwordx4 v[22:25], v31, s[10:11]
	v_readfirstlane_b32 s14, v6
	v_readfirstlane_b32 s15, v7
	s_mov_b64 s[16:17], exec
	s_waitcnt vmcnt(1)
	v_readfirstlane_b32 s18, v34
	v_readfirstlane_b32 s19, v35
	s_and_b64 s[18:19], s[14:15], s[18:19]
	s_mul_i32 s20, s19, 24
	s_mul_hi_u32 s21, s18, 24
	s_mul_i32 s24, s18, 24
	s_add_i32 s20, s21, s20
	v_mov_b32_e32 v6, s20
	s_waitcnt vmcnt(0)
	v_add_co_u32_e32 v34, vcc, s24, v22
	v_addc_co_u32_e32 v35, vcc, v23, v6, vcc
	s_and_saveexec_b64 s[20:21], s[4:5]
	s_cbranch_execz .LBB22_346
; %bb.345:                              ;   in Loop: Header=BB22_282 Depth=1
	v_pk_mov_b32 v[6:7], s[16:17], s[16:17] op_sel:[0,1]
	global_store_dwordx4 v[34:35], v[6:9], off offset:8
.LBB22_346:                             ;   in Loop: Header=BB22_282 Depth=1
	s_or_b64 exec, exec, s[20:21]
	s_lshl_b64 s[16:17], s[18:19], 12
	v_mov_b32_e32 v7, s17
	v_add_co_u32_e32 v6, vcc, s16, v24
	v_addc_co_u32_e32 v7, vcc, v25, v7, vcc
	v_or_b32_e32 v24, 0, v1
	v_cmp_lt_u64_e32 vcc, 56, v[26:27]
	v_or_b32_e32 v25, v0, v28
	v_cndmask_b32_e32 v1, v24, v1, vcc
	v_lshl_add_u32 v24, v32, 2, 28
	v_cndmask_b32_e32 v0, v25, v0, vcc
	v_and_b32_e32 v24, 0x1e0, v24
	v_and_or_b32 v0, v0, s23, v24
	v_readfirstlane_b32 s16, v6
	v_readfirstlane_b32 s17, v7
	s_nop 4
	global_store_dwordx4 v36, v[0:3], s[16:17]
	global_store_dwordx4 v36, v[10:13], s[16:17] offset:16
	global_store_dwordx4 v36, v[14:17], s[16:17] offset:32
	;; [unrolled: 1-line block ×3, first 2 shown]
	s_and_saveexec_b64 s[16:17], s[4:5]
	s_cbranch_execz .LBB22_354
; %bb.347:                              ;   in Loop: Header=BB22_282 Depth=1
	global_load_dwordx2 v[14:15], v31, s[10:11] offset:32 glc
	global_load_dwordx2 v[0:1], v31, s[10:11] offset:40
	v_mov_b32_e32 v12, s14
	v_mov_b32_e32 v13, s15
	s_waitcnt vmcnt(0)
	v_readfirstlane_b32 s18, v0
	v_readfirstlane_b32 s19, v1
	s_and_b64 s[18:19], s[18:19], s[14:15]
	s_mul_i32 s19, s19, 24
	s_mul_hi_u32 s20, s18, 24
	s_mul_i32 s18, s18, 24
	s_add_i32 s19, s20, s19
	v_mov_b32_e32 v0, s19
	v_add_co_u32_e32 v10, vcc, s18, v22
	v_addc_co_u32_e32 v11, vcc, v23, v0, vcc
	global_store_dwordx2 v[10:11], v[14:15], off
	buffer_wbl2
	s_waitcnt vmcnt(0)
	global_atomic_cmpswap_x2 v[2:3], v31, v[12:15], s[10:11] offset:32 glc
	s_waitcnt vmcnt(0)
	v_cmp_ne_u64_e32 vcc, v[2:3], v[14:15]
	s_and_saveexec_b64 s[18:19], vcc
	s_cbranch_execz .LBB22_350
; %bb.348:                              ;   in Loop: Header=BB22_282 Depth=1
	s_mov_b64 s[20:21], 0
.LBB22_349:                             ;   Parent Loop BB22_282 Depth=1
                                        ; =>  This Inner Loop Header: Depth=2
	s_sleep 1
	global_store_dwordx2 v[10:11], v[2:3], off
	v_mov_b32_e32 v0, s14
	v_mov_b32_e32 v1, s15
	buffer_wbl2
	s_waitcnt vmcnt(0)
	global_atomic_cmpswap_x2 v[0:1], v31, v[0:3], s[10:11] offset:32 glc
	s_waitcnt vmcnt(0)
	v_cmp_eq_u64_e32 vcc, v[0:1], v[2:3]
	s_or_b64 s[20:21], vcc, s[20:21]
	v_pk_mov_b32 v[2:3], v[0:1], v[0:1] op_sel:[0,1]
	s_andn2_b64 exec, exec, s[20:21]
	s_cbranch_execnz .LBB22_349
.LBB22_350:                             ;   in Loop: Header=BB22_282 Depth=1
	s_or_b64 exec, exec, s[18:19]
	global_load_dwordx2 v[0:1], v31, s[10:11] offset:16
	s_mov_b64 s[20:21], exec
	v_mbcnt_lo_u32_b32 v2, s20, 0
	v_mbcnt_hi_u32_b32 v2, s21, v2
	v_cmp_eq_u32_e32 vcc, 0, v2
	s_and_saveexec_b64 s[18:19], vcc
	s_cbranch_execz .LBB22_352
; %bb.351:                              ;   in Loop: Header=BB22_282 Depth=1
	s_bcnt1_i32_b64 s20, s[20:21]
	v_mov_b32_e32 v30, s20
	buffer_wbl2
	s_waitcnt vmcnt(0)
	global_atomic_add_x2 v[0:1], v[30:31], off offset:8
.LBB22_352:                             ;   in Loop: Header=BB22_282 Depth=1
	s_or_b64 exec, exec, s[18:19]
	s_waitcnt vmcnt(0)
	global_load_dwordx2 v[2:3], v[0:1], off offset:16
	s_waitcnt vmcnt(0)
	v_cmp_eq_u64_e32 vcc, 0, v[2:3]
	s_cbranch_vccnz .LBB22_354
; %bb.353:                              ;   in Loop: Header=BB22_282 Depth=1
	global_load_dword v30, v[0:1], off offset:24
	s_waitcnt vmcnt(0)
	v_and_b32_e32 v0, 0xffffff, v30
	v_readfirstlane_b32 m0, v0
	buffer_wbl2
	global_store_dwordx2 v[2:3], v[30:31], off
	s_sendmsg sendmsg(MSG_INTERRUPT)
.LBB22_354:                             ;   in Loop: Header=BB22_282 Depth=1
	s_or_b64 exec, exec, s[16:17]
	v_add_co_u32_e32 v0, vcc, v6, v36
	v_addc_co_u32_e32 v1, vcc, 0, v7, vcc
	s_branch .LBB22_358
.LBB22_355:                             ;   in Loop: Header=BB22_358 Depth=2
	s_or_b64 exec, exec, s[16:17]
	v_readfirstlane_b32 s16, v2
	s_cmp_eq_u32 s16, 0
	s_cbranch_scc1 .LBB22_357
; %bb.356:                              ;   in Loop: Header=BB22_358 Depth=2
	s_sleep 1
	s_cbranch_execnz .LBB22_358
	s_branch .LBB22_360
.LBB22_357:                             ;   in Loop: Header=BB22_282 Depth=1
	s_branch .LBB22_360
.LBB22_358:                             ;   Parent Loop BB22_282 Depth=1
                                        ; =>  This Inner Loop Header: Depth=2
	v_mov_b32_e32 v2, 1
	s_and_saveexec_b64 s[16:17], s[4:5]
	s_cbranch_execz .LBB22_355
; %bb.359:                              ;   in Loop: Header=BB22_358 Depth=2
	global_load_dword v2, v[34:35], off offset:20 glc
	s_waitcnt vmcnt(0)
	buffer_invl2
	buffer_wbinvl1_vol
	v_and_b32_e32 v2, 1, v2
	s_branch .LBB22_355
.LBB22_360:                             ;   in Loop: Header=BB22_282 Depth=1
	global_load_dwordx4 v[0:3], v[0:1], off
	s_and_saveexec_b64 s[16:17], s[4:5]
	s_cbranch_execz .LBB22_281
; %bb.361:                              ;   in Loop: Header=BB22_282 Depth=1
	global_load_dwordx2 v[2:3], v31, s[10:11] offset:40
	global_load_dwordx2 v[6:7], v31, s[10:11] offset:24 glc
	global_load_dwordx2 v[14:15], v31, s[10:11]
	v_mov_b32_e32 v11, s15
	s_waitcnt vmcnt(2)
	v_add_co_u32_e32 v13, vcc, 1, v2
	v_addc_co_u32_e32 v16, vcc, 0, v3, vcc
	v_add_co_u32_e32 v10, vcc, s14, v13
	v_addc_co_u32_e32 v11, vcc, v16, v11, vcc
	v_cmp_eq_u64_e32 vcc, 0, v[10:11]
	v_cndmask_b32_e32 v11, v11, v16, vcc
	v_cndmask_b32_e32 v10, v10, v13, vcc
	v_and_b32_e32 v3, v11, v3
	v_and_b32_e32 v2, v10, v2
	v_mul_lo_u32 v3, v3, 24
	v_mul_hi_u32 v13, v2, 24
	v_mul_lo_u32 v2, v2, 24
	v_add_u32_e32 v3, v13, v3
	s_waitcnt vmcnt(0)
	v_add_co_u32_e32 v2, vcc, v14, v2
	v_addc_co_u32_e32 v3, vcc, v15, v3, vcc
	v_mov_b32_e32 v12, v6
	global_store_dwordx2 v[2:3], v[6:7], off
	v_mov_b32_e32 v13, v7
	buffer_wbl2
	s_waitcnt vmcnt(0)
	global_atomic_cmpswap_x2 v[12:13], v31, v[10:13], s[10:11] offset:24 glc
	s_waitcnt vmcnt(0)
	v_cmp_ne_u64_e32 vcc, v[12:13], v[6:7]
	s_and_b64 exec, exec, vcc
	s_cbranch_execz .LBB22_281
; %bb.362:                              ;   in Loop: Header=BB22_282 Depth=1
	s_mov_b64 s[4:5], 0
.LBB22_363:                             ;   Parent Loop BB22_282 Depth=1
                                        ; =>  This Inner Loop Header: Depth=2
	s_sleep 1
	global_store_dwordx2 v[2:3], v[12:13], off
	buffer_wbl2
	s_waitcnt vmcnt(0)
	global_atomic_cmpswap_x2 v[6:7], v31, v[10:13], s[10:11] offset:24 glc
	s_waitcnt vmcnt(0)
	v_cmp_eq_u64_e32 vcc, v[6:7], v[12:13]
	s_or_b64 s[4:5], vcc, s[4:5]
	v_pk_mov_b32 v[12:13], v[6:7], v[6:7] op_sel:[0,1]
	s_andn2_b64 exec, exec, s[4:5]
	s_cbranch_execnz .LBB22_363
	s_branch .LBB22_281
.LBB22_364:
	s_or_b64 exec, exec, s[6:7]
                                        ; implicit-def: $vgpr36
                                        ; implicit-def: $vgpr37
.LBB22_365:
	s_andn2_saveexec_b64 s[6:7], s[12:13]
	s_cbranch_execz .LBB22_392
; %bb.366:
	v_readfirstlane_b32 s4, v37
	v_cmp_eq_u32_e64 s[4:5], s4, v37
	v_pk_mov_b32 v[8:9], 0, 0
	s_and_saveexec_b64 s[12:13], s[4:5]
	s_cbranch_execz .LBB22_372
; %bb.367:
	s_waitcnt vmcnt(0)
	v_mov_b32_e32 v2, 0
	global_load_dwordx2 v[6:7], v2, s[10:11] offset:24 glc
	s_waitcnt vmcnt(0)
	buffer_invl2
	buffer_wbinvl1_vol
	global_load_dwordx2 v[4:5], v2, s[10:11] offset:40
	global_load_dwordx2 v[8:9], v2, s[10:11]
	s_waitcnt vmcnt(1)
	v_and_b32_e32 v3, v4, v6
	v_and_b32_e32 v4, v5, v7
	v_mul_lo_u32 v4, v4, 24
	v_mul_hi_u32 v5, v3, 24
	v_mul_lo_u32 v3, v3, 24
	v_add_u32_e32 v5, v5, v4
	s_waitcnt vmcnt(0)
	v_add_co_u32_e32 v4, vcc, v8, v3
	v_addc_co_u32_e32 v5, vcc, v9, v5, vcc
	global_load_dwordx2 v[4:5], v[4:5], off glc
	s_waitcnt vmcnt(0)
	global_atomic_cmpswap_x2 v[8:9], v2, v[4:7], s[10:11] offset:24 glc
	s_waitcnt vmcnt(0)
	buffer_invl2
	buffer_wbinvl1_vol
	v_cmp_ne_u64_e32 vcc, v[8:9], v[6:7]
	s_and_saveexec_b64 s[14:15], vcc
	s_cbranch_execz .LBB22_371
; %bb.368:
	s_mov_b64 s[16:17], 0
.LBB22_369:                             ; =>This Inner Loop Header: Depth=1
	s_sleep 1
	global_load_dwordx2 v[4:5], v2, s[10:11] offset:40
	global_load_dwordx2 v[10:11], v2, s[10:11]
	v_pk_mov_b32 v[6:7], v[8:9], v[8:9] op_sel:[0,1]
	s_waitcnt vmcnt(1)
	v_and_b32_e32 v4, v4, v6
	v_and_b32_e32 v3, v5, v7
	s_waitcnt vmcnt(0)
	v_mad_u64_u32 v[4:5], s[18:19], v4, 24, v[10:11]
	v_mov_b32_e32 v8, v5
	v_mad_u64_u32 v[8:9], s[18:19], v3, 24, v[8:9]
	v_mov_b32_e32 v5, v8
	global_load_dwordx2 v[4:5], v[4:5], off glc
	s_waitcnt vmcnt(0)
	global_atomic_cmpswap_x2 v[8:9], v2, v[4:7], s[10:11] offset:24 glc
	s_waitcnt vmcnt(0)
	buffer_invl2
	buffer_wbinvl1_vol
	v_cmp_eq_u64_e32 vcc, v[8:9], v[6:7]
	s_or_b64 s[16:17], vcc, s[16:17]
	s_andn2_b64 exec, exec, s[16:17]
	s_cbranch_execnz .LBB22_369
; %bb.370:
	s_or_b64 exec, exec, s[16:17]
.LBB22_371:
	s_or_b64 exec, exec, s[14:15]
.LBB22_372:
	s_or_b64 exec, exec, s[12:13]
	s_waitcnt vmcnt(0)
	v_mov_b32_e32 v2, 0
	global_load_dwordx2 v[10:11], v2, s[10:11] offset:40
	global_load_dwordx4 v[4:7], v2, s[10:11]
	v_readfirstlane_b32 s12, v8
	v_readfirstlane_b32 s13, v9
	s_mov_b64 s[14:15], exec
	s_waitcnt vmcnt(1)
	v_readfirstlane_b32 s16, v10
	v_readfirstlane_b32 s17, v11
	s_and_b64 s[16:17], s[12:13], s[16:17]
	s_mul_i32 s18, s17, 24
	s_mul_hi_u32 s19, s16, 24
	s_mul_i32 s20, s16, 24
	s_add_i32 s18, s19, s18
	v_mov_b32_e32 v3, s18
	s_waitcnt vmcnt(0)
	v_add_co_u32_e32 v8, vcc, s20, v4
	v_addc_co_u32_e32 v9, vcc, v5, v3, vcc
	s_and_saveexec_b64 s[18:19], s[4:5]
	s_cbranch_execz .LBB22_374
; %bb.373:
	v_pk_mov_b32 v[10:11], s[14:15], s[14:15] op_sel:[0,1]
	v_mov_b32_e32 v12, 2
	v_mov_b32_e32 v13, 1
	global_store_dwordx4 v[8:9], v[10:13], off offset:8
.LBB22_374:
	s_or_b64 exec, exec, s[18:19]
	s_lshl_b64 s[14:15], s[16:17], 12
	v_mov_b32_e32 v3, s15
	v_add_co_u32_e32 v10, vcc, s14, v6
	v_addc_co_u32_e32 v11, vcc, v7, v3, vcc
	s_movk_i32 s14, 0xff1f
	s_mov_b32 s16, 0
	v_and_or_b32 v0, v0, s14, 32
	v_mov_b32_e32 v3, v2
	v_readfirstlane_b32 s14, v10
	v_readfirstlane_b32 s15, v11
	s_mov_b32 s17, s16
	v_add_co_u32_e32 v6, vcc, v10, v36
	s_mov_b32 s18, s16
	s_mov_b32 s19, s16
	s_nop 0
	global_store_dwordx4 v36, v[0:3], s[14:15]
	v_addc_co_u32_e32 v7, vcc, 0, v11, vcc
	v_pk_mov_b32 v[0:1], s[16:17], s[16:17] op_sel:[0,1]
	v_pk_mov_b32 v[2:3], s[18:19], s[18:19] op_sel:[0,1]
	global_store_dwordx4 v36, v[0:3], s[14:15] offset:16
	global_store_dwordx4 v36, v[0:3], s[14:15] offset:32
	;; [unrolled: 1-line block ×3, first 2 shown]
	s_and_saveexec_b64 s[14:15], s[4:5]
	s_cbranch_execz .LBB22_382
; %bb.375:
	v_mov_b32_e32 v10, 0
	global_load_dwordx2 v[14:15], v10, s[10:11] offset:32 glc
	global_load_dwordx2 v[0:1], v10, s[10:11] offset:40
	v_mov_b32_e32 v12, s12
	v_mov_b32_e32 v13, s13
	s_waitcnt vmcnt(0)
	v_readfirstlane_b32 s16, v0
	v_readfirstlane_b32 s17, v1
	s_and_b64 s[16:17], s[16:17], s[12:13]
	s_mul_i32 s17, s17, 24
	s_mul_hi_u32 s18, s16, 24
	s_mul_i32 s16, s16, 24
	s_add_i32 s17, s18, s17
	v_mov_b32_e32 v0, s17
	v_add_co_u32_e32 v4, vcc, s16, v4
	v_addc_co_u32_e32 v5, vcc, v5, v0, vcc
	global_store_dwordx2 v[4:5], v[14:15], off
	buffer_wbl2
	s_waitcnt vmcnt(0)
	global_atomic_cmpswap_x2 v[2:3], v10, v[12:15], s[10:11] offset:32 glc
	s_waitcnt vmcnt(0)
	v_cmp_ne_u64_e32 vcc, v[2:3], v[14:15]
	s_and_saveexec_b64 s[16:17], vcc
	s_cbranch_execz .LBB22_378
; %bb.376:
	s_mov_b64 s[18:19], 0
.LBB22_377:                             ; =>This Inner Loop Header: Depth=1
	s_sleep 1
	global_store_dwordx2 v[4:5], v[2:3], off
	v_mov_b32_e32 v0, s12
	v_mov_b32_e32 v1, s13
	buffer_wbl2
	s_waitcnt vmcnt(0)
	global_atomic_cmpswap_x2 v[0:1], v10, v[0:3], s[10:11] offset:32 glc
	s_waitcnt vmcnt(0)
	v_cmp_eq_u64_e32 vcc, v[0:1], v[2:3]
	s_or_b64 s[18:19], vcc, s[18:19]
	v_pk_mov_b32 v[2:3], v[0:1], v[0:1] op_sel:[0,1]
	s_andn2_b64 exec, exec, s[18:19]
	s_cbranch_execnz .LBB22_377
.LBB22_378:
	s_or_b64 exec, exec, s[16:17]
	v_mov_b32_e32 v3, 0
	global_load_dwordx2 v[0:1], v3, s[10:11] offset:16
	s_mov_b64 s[16:17], exec
	v_mbcnt_lo_u32_b32 v2, s16, 0
	v_mbcnt_hi_u32_b32 v2, s17, v2
	v_cmp_eq_u32_e32 vcc, 0, v2
	s_and_saveexec_b64 s[18:19], vcc
	s_cbranch_execz .LBB22_380
; %bb.379:
	s_bcnt1_i32_b64 s16, s[16:17]
	v_mov_b32_e32 v2, s16
	buffer_wbl2
	s_waitcnt vmcnt(0)
	global_atomic_add_x2 v[0:1], v[2:3], off offset:8
.LBB22_380:
	s_or_b64 exec, exec, s[18:19]
	s_waitcnt vmcnt(0)
	global_load_dwordx2 v[2:3], v[0:1], off offset:16
	s_waitcnt vmcnt(0)
	v_cmp_eq_u64_e32 vcc, 0, v[2:3]
	s_cbranch_vccnz .LBB22_382
; %bb.381:
	global_load_dword v0, v[0:1], off offset:24
	v_mov_b32_e32 v1, 0
	buffer_wbl2
	s_waitcnt vmcnt(0)
	global_store_dwordx2 v[2:3], v[0:1], off
	v_and_b32_e32 v0, 0xffffff, v0
	v_readfirstlane_b32 m0, v0
	s_sendmsg sendmsg(MSG_INTERRUPT)
.LBB22_382:
	s_or_b64 exec, exec, s[14:15]
	s_branch .LBB22_386
.LBB22_383:                             ;   in Loop: Header=BB22_386 Depth=1
	s_or_b64 exec, exec, s[14:15]
	v_readfirstlane_b32 s14, v0
	s_cmp_eq_u32 s14, 0
	s_cbranch_scc1 .LBB22_385
; %bb.384:                              ;   in Loop: Header=BB22_386 Depth=1
	s_sleep 1
	s_cbranch_execnz .LBB22_386
	s_branch .LBB22_388
.LBB22_385:
	s_branch .LBB22_388
.LBB22_386:                             ; =>This Inner Loop Header: Depth=1
	v_mov_b32_e32 v0, 1
	s_and_saveexec_b64 s[14:15], s[4:5]
	s_cbranch_execz .LBB22_383
; %bb.387:                              ;   in Loop: Header=BB22_386 Depth=1
	global_load_dword v0, v[8:9], off offset:20 glc
	s_waitcnt vmcnt(0)
	buffer_invl2
	buffer_wbinvl1_vol
	v_and_b32_e32 v0, 1, v0
	s_branch .LBB22_383
.LBB22_388:
	global_load_dwordx2 v[0:1], v[6:7], off
	s_and_saveexec_b64 s[14:15], s[4:5]
	s_cbranch_execz .LBB22_391
; %bb.389:
	v_mov_b32_e32 v8, 0
	global_load_dwordx2 v[6:7], v8, s[10:11] offset:40
	global_load_dwordx2 v[10:11], v8, s[10:11] offset:24 glc
	global_load_dwordx2 v[12:13], v8, s[10:11]
	v_mov_b32_e32 v3, s13
	s_mov_b64 s[4:5], 0
	s_waitcnt vmcnt(2)
	v_add_co_u32_e32 v5, vcc, 1, v6
	v_addc_co_u32_e32 v9, vcc, 0, v7, vcc
	v_add_co_u32_e32 v2, vcc, s12, v5
	v_addc_co_u32_e32 v3, vcc, v9, v3, vcc
	v_cmp_eq_u64_e32 vcc, 0, v[2:3]
	v_cndmask_b32_e32 v3, v3, v9, vcc
	v_cndmask_b32_e32 v2, v2, v5, vcc
	v_and_b32_e32 v5, v3, v7
	v_and_b32_e32 v6, v2, v6
	v_mul_lo_u32 v5, v5, 24
	v_mul_hi_u32 v7, v6, 24
	v_mul_lo_u32 v6, v6, 24
	v_add_u32_e32 v5, v7, v5
	s_waitcnt vmcnt(0)
	v_add_co_u32_e32 v6, vcc, v12, v6
	v_addc_co_u32_e32 v7, vcc, v13, v5, vcc
	v_mov_b32_e32 v4, v10
	global_store_dwordx2 v[6:7], v[10:11], off
	v_mov_b32_e32 v5, v11
	buffer_wbl2
	s_waitcnt vmcnt(0)
	global_atomic_cmpswap_x2 v[4:5], v8, v[2:5], s[10:11] offset:24 glc
	s_waitcnt vmcnt(0)
	v_cmp_ne_u64_e32 vcc, v[4:5], v[10:11]
	s_and_b64 exec, exec, vcc
	s_cbranch_execz .LBB22_391
.LBB22_390:                             ; =>This Inner Loop Header: Depth=1
	s_sleep 1
	global_store_dwordx2 v[6:7], v[4:5], off
	buffer_wbl2
	s_waitcnt vmcnt(0)
	global_atomic_cmpswap_x2 v[10:11], v8, v[2:5], s[10:11] offset:24 glc
	s_waitcnt vmcnt(0)
	v_cmp_eq_u64_e32 vcc, v[10:11], v[4:5]
	s_or_b64 s[4:5], vcc, s[4:5]
	v_pk_mov_b32 v[4:5], v[10:11], v[10:11] op_sel:[0,1]
	s_andn2_b64 exec, exec, s[4:5]
	s_cbranch_execnz .LBB22_390
.LBB22_391:
	s_or_b64 exec, exec, s[14:15]
.LBB22_392:
	s_or_b64 exec, exec, s[6:7]
	s_getpc_b64 s[4:5]
	s_add_u32 s4, s4, .str.1@rel32@lo+4
	s_addc_u32 s5, s5, .str.1@rel32@hi+12
	s_getpc_b64 s[6:7]
	s_add_u32 s6, s6, .str.1@rel32@lo+22
	s_addc_u32 s7, s7, .str.1@rel32@hi+30
	s_sub_i32 s10, s6, s4
	s_ashr_i32 s11, s10, 31
	s_waitcnt vmcnt(0)
	v_mov_b32_e32 v2, s4
	v_mov_b32_e32 v3, s5
	;; [unrolled: 1-line block ×5, first 2 shown]
	s_getpc_b64 s[6:7]
	s_add_u32 s6, s6, __ockl_fprintf_append_string_n@rel32@lo+4
	s_addc_u32 s7, s7, __ockl_fprintf_append_string_n@rel32@hi+12
	s_swappc_b64 s[30:31], s[6:7]
	s_trap 2
.Lfunc_end22:
	.size	__assert_fail, .Lfunc_end22-__assert_fail
                                        ; -- End function
	.section	.AMDGPU.csdata,"",@progbits
; Function info:
; codeLenInByte = 15360
; NumSgprs: 38
; NumVgprs: 41
; NumAgprs: 0
; TotalNumVgprs: 41
; ScratchSize: 64
; MemoryBound: 0
	.section	.text._ZN4vllm3moe7moeTopKILi256EiEEvPKfPKbPfPT0_Piiiii,"axG",@progbits,_ZN4vllm3moe7moeTopKILi256EiEEvPKfPKbPfPT0_Piiiii,comdat
	.protected	_ZN4vllm3moe7moeTopKILi256EiEEvPKfPKbPfPT0_Piiiii ; -- Begin function _ZN4vllm3moe7moeTopKILi256EiEEvPKfPKbPfPT0_Piiiii
	.globl	_ZN4vllm3moe7moeTopKILi256EiEEvPKfPKbPfPT0_Piiiii
	.p2align	8
	.type	_ZN4vllm3moe7moeTopKILi256EiEEvPKfPKbPfPT0_Piiiii,@function
_ZN4vllm3moe7moeTopKILi256EiEEvPKfPKbPfPT0_Piiiii: ; @_ZN4vllm3moe7moeTopKILi256EiEEvPKfPKbPfPT0_Piiiii
; %bb.0:
	s_load_dwordx8 s[20:27], s[4:5], 0x0
	s_add_u32 flat_scratch_lo, s6, s9
	s_addc_u32 flat_scratch_hi, s7, 0
	s_add_u32 s0, s0, s9
	s_addc_u32 s1, s1, 0
	s_waitcnt lgkmcnt(0)
	s_cmp_eq_u64 s[22:23], 0
	s_mov_b32 s32, 0
	s_cbranch_scc1 .LBB23_3
; %bb.1:
	s_ashr_i32 s7, s8, 31
	s_add_u32 s6, s22, s8
	s_addc_u32 s7, s23, s7
	v_mov_b32_e32 v1, 0
	global_load_ubyte v1, v1, s[6:7]
	s_waitcnt vmcnt(0)
	v_readfirstlane_b32 s6, v1
	s_bitcmp1_b32 s6, 0
	s_cselect_b64 s[6:7], -1, 0
	s_xor_b64 s[22:23], s[6:7], -1
	s_load_dwordx4 s[28:31], s[4:5], 0x28
	s_waitcnt lgkmcnt(0)
	s_cmp_lt_i32 s29, 1
	s_cbranch_scc0 .LBB23_4
.LBB23_2:
	s_endpgm
.LBB23_3:
	s_mov_b64 s[22:23], -1
	s_load_dwordx4 s[28:31], s[4:5], 0x28
	s_waitcnt lgkmcnt(0)
	s_cmp_lt_i32 s29, 1
	s_cbranch_scc1 .LBB23_2
.LBB23_4:
	v_mbcnt_lo_u32_b32 v1, -1, 0
	v_mbcnt_hi_u32_b32 v5, -1, v1
	v_and_b32_e32 v6, 3, v5
	v_cmp_ne_u32_e32 vcc, 3, v6
	s_load_dwordx2 s[34:35], s[4:5], 0x20
	s_load_dword s9, s[4:5], 0x38
	s_mul_i32 s36, s8, s29
	v_addc_co_u32_e32 v4, vcc, 0, v5, vcc
	v_cmp_gt_u32_e32 vcc, 2, v6
	s_ashr_i32 s37, s36, 31
	v_lshlrev_b32_e32 v3, 3, v6
	v_cndmask_b32_e64 v6, 0, 1, vcc
	s_lshl_b64 s[14:15], s[36:37], 2
	v_bfrev_b32_e32 v1, 0.5
	v_lshrrev_b32_e32 v2, 3, v0
	v_lshlrev_b32_e32 v6, 1, v6
	s_add_u32 s38, s26, s14
	s_mul_i32 s33, s8, s28
	v_cmp_gt_i32_e64 s[6:7], s28, v0
	s_mov_b32 s52, 0
	v_lshl_or_b32 v1, v5, 2, v1
	v_cmp_eq_u32_e64 s[16:17], 0, v5
	v_and_b32_e32 v2, 24, v2
	v_cmp_gt_u32_e64 s[10:11], 64, v0
	v_lshlrev_b32_e32 v4, 2, v4
	v_add_lshl_u32 v5, v6, v5, 2
	v_cmp_eq_u32_e64 s[12:13], 0, v0
	s_addc_u32 s39, s27, s15
	s_mov_b64 s[40:41], 0
	v_mov_b32_e32 v6, 0
                                        ; implicit-def: $sgpr42_sgpr43
                                        ; implicit-def: $sgpr44_sgpr45
	s_branch .LBB23_6
.LBB23_5:                               ;   in Loop: Header=BB23_6 Depth=1
	s_or_b64 exec, exec, s[46:47]
	s_and_b64 s[14:15], exec, s[18:19]
	s_or_b64 s[40:41], s[14:15], s[40:41]
	s_andn2_b64 s[14:15], s[42:43], exec
	s_and_b64 s[18:19], s[44:45], exec
	s_or_b64 s[42:43], s[14:15], s[18:19]
	s_andn2_b64 exec, exec, s[40:41]
	s_cbranch_execz .LBB23_26
.LBB23_6:                               ; =>This Loop Header: Depth=1
                                        ;     Child Loop BB23_9 Depth 2
                                        ;       Child Loop BB23_11 Depth 3
	v_mov_b32_e32 v7, -1.0
	v_mov_b32_e32 v8, 0
	s_and_saveexec_b64 s[46:47], s[6:7]
	s_cbranch_execz .LBB23_16
; %bb.7:                                ;   in Loop: Header=BB23_6 Depth=1
	s_cmp_lg_u32 s52, 0
	s_cselect_b64 s[14:15], -1, 0
	v_cndmask_b32_e64 v9, 0, 1, s[14:15]
	s_mov_b64 s[48:49], 0
	v_mov_b32_e32 v7, -1.0
	v_mov_b32_e32 v8, 0
	v_cmp_ne_u32_e64 s[14:15], 1, v9
	v_mov_b32_e32 v9, v0
	s_branch .LBB23_9
.LBB23_8:                               ;   in Loop: Header=BB23_9 Depth=2
	s_or_b64 exec, exec, s[50:51]
	v_add_u32_e32 v9, 0x100, v9
	v_cmp_le_i32_e32 vcc, s28, v9
	s_or_b64 s[48:49], vcc, s[48:49]
	s_andn2_b64 exec, exec, s[48:49]
	s_cbranch_execz .LBB23_15
.LBB23_9:                               ;   Parent Loop BB23_6 Depth=1
                                        ; =>  This Loop Header: Depth=2
                                        ;       Child Loop BB23_11 Depth 3
	v_add_u32_e32 v10, s33, v9
	v_ashrrev_i32_e32 v11, 31, v10
	v_lshlrev_b64 v[10:11], 2, v[10:11]
	v_mov_b32_e32 v12, s21
	v_add_co_u32_e32 v10, vcc, s20, v10
	v_addc_co_u32_e32 v11, vcc, v12, v11, vcc
	global_load_dword v10, v[10:11], off
	s_and_b64 vcc, exec, s[14:15]
	s_cbranch_vccnz .LBB23_13
; %bb.10:                               ;   in Loop: Header=BB23_9 Depth=2
	s_mov_b32 s37, 0
	s_mov_b64 s[18:19], s[38:39]
	v_mov_b32_e32 v11, v9
.LBB23_11:                              ;   Parent Loop BB23_6 Depth=1
                                        ;     Parent Loop BB23_9 Depth=2
                                        ; =>    This Inner Loop Header: Depth=3
	global_load_dword v12, v6, s[18:19]
	s_add_i32 s37, s37, 1
	s_add_u32 s18, s18, 4
	s_addc_u32 s19, s19, 0
	s_cmp_ge_u32 s37, s52
	s_waitcnt vmcnt(0)
	v_cmp_eq_u32_e32 vcc, v12, v9
	v_cndmask_b32_e32 v11, v11, v8, vcc
	v_cndmask_b32_e32 v10, v10, v7, vcc
	s_cbranch_scc0 .LBB23_11
; %bb.12:                               ;   in Loop: Header=BB23_9 Depth=2
	v_cmp_ngt_f32_e32 vcc, v7, v10
	s_and_saveexec_b64 s[50:51], vcc
	s_cbranch_execz .LBB23_8
	s_branch .LBB23_14
.LBB23_13:                              ;   in Loop: Header=BB23_9 Depth=2
	v_mov_b32_e32 v11, v9
	s_waitcnt vmcnt(0)
	v_cmp_ngt_f32_e32 vcc, v7, v10
	s_and_saveexec_b64 s[50:51], vcc
	s_cbranch_execz .LBB23_8
.LBB23_14:                              ;   in Loop: Header=BB23_9 Depth=2
	v_cmp_eq_f32_e32 vcc, v10, v7
	v_cmp_lt_i32_e64 s[18:19], v8, v11
	s_and_b64 vcc, vcc, s[18:19]
	v_cndmask_b32_e32 v7, v10, v7, vcc
	v_cndmask_b32_e32 v8, v11, v8, vcc
	s_branch .LBB23_8
.LBB23_15:                              ;   in Loop: Header=BB23_6 Depth=1
	s_or_b64 exec, exec, s[48:49]
.LBB23_16:                              ;   in Loop: Header=BB23_6 Depth=1
	s_or_b64 exec, exec, s[46:47]
	v_mov_b32_dpp v9, v8 quad_perm:[1,0,3,2] row_mask:0xf bank_mask:0xf
	v_mov_b32_dpp v10, v7 quad_perm:[1,0,3,2] row_mask:0xf bank_mask:0xf
	v_cmp_eq_f32_e32 vcc, v7, v10
	v_cmp_lt_i32_e64 s[14:15], v8, v9
	s_and_b64 vcc, vcc, s[14:15]
	v_cmp_gt_f32_e64 s[14:15], v7, v10
	v_cndmask_b32_e32 v11, v10, v7, vcc
	s_or_b64 vcc, s[14:15], vcc
	v_cndmask_b32_e64 v7, v11, v7, s[14:15]
	v_cndmask_b32_e32 v8, v9, v8, vcc
	s_nop 0
	v_mov_b32_dpp v10, v7 quad_perm:[2,3,0,1] row_mask:0xf bank_mask:0xf
	v_mov_b32_dpp v9, v8 quad_perm:[2,3,0,1] row_mask:0xf bank_mask:0xf
	v_cmp_eq_f32_e32 vcc, v7, v10
	v_cmp_lt_i32_e64 s[14:15], v8, v9
	s_and_b64 vcc, vcc, s[14:15]
	v_cmp_gt_f32_e64 s[14:15], v7, v10
	v_cndmask_b32_e32 v11, v10, v7, vcc
	s_or_b64 vcc, s[14:15], vcc
	v_cndmask_b32_e64 v7, v11, v7, s[14:15]
	v_cndmask_b32_e32 v8, v9, v8, vcc
	s_nop 0
	v_mov_b32_dpp v10, v7 row_ror:4 row_mask:0xf bank_mask:0xf
	v_mov_b32_dpp v9, v8 row_ror:4 row_mask:0xf bank_mask:0xf
	v_cmp_eq_f32_e32 vcc, v7, v10
	v_cmp_lt_i32_e64 s[14:15], v8, v9
	s_and_b64 vcc, vcc, s[14:15]
	v_cmp_gt_f32_e64 s[14:15], v7, v10
	v_cndmask_b32_e32 v11, v10, v7, vcc
	s_or_b64 vcc, s[14:15], vcc
	v_cndmask_b32_e64 v7, v11, v7, s[14:15]
	v_cndmask_b32_e32 v8, v9, v8, vcc
	s_nop 0
	v_mov_b32_dpp v10, v7 row_ror:8 row_mask:0xf bank_mask:0xf
	v_mov_b32_dpp v9, v8 row_ror:8 row_mask:0xf bank_mask:0xf
	v_cmp_eq_f32_e32 vcc, v7, v10
	v_cmp_lt_i32_e64 s[14:15], v8, v9
	s_and_b64 vcc, vcc, s[14:15]
	v_cmp_gt_f32_e64 s[14:15], v7, v10
	v_cndmask_b32_e32 v11, v10, v7, vcc
	s_or_b64 vcc, s[14:15], vcc
	v_cndmask_b32_e64 v7, v11, v7, s[14:15]
	v_cndmask_b32_e32 v8, v9, v8, vcc
	s_nop 0
	v_mov_b32_dpp v10, v7 row_bcast:15 row_mask:0xf bank_mask:0xf
	v_mov_b32_dpp v9, v8 row_bcast:15 row_mask:0xf bank_mask:0xf
	v_cmp_eq_f32_e32 vcc, v7, v10
	v_cmp_lt_i32_e64 s[14:15], v8, v9
	s_and_b64 vcc, vcc, s[14:15]
	v_cmp_gt_f32_e64 s[14:15], v7, v10
	v_cndmask_b32_e32 v11, v10, v7, vcc
	s_or_b64 vcc, s[14:15], vcc
	v_cndmask_b32_e64 v7, v11, v7, s[14:15]
	v_cndmask_b32_e32 v8, v9, v8, vcc
	s_nop 0
	v_mov_b32_dpp v10, v7 row_bcast:31 row_mask:0xf bank_mask:0xf
	v_mov_b32_dpp v9, v8 row_bcast:31 row_mask:0xf bank_mask:0xf
	v_cmp_eq_f32_e32 vcc, v7, v10
	v_cmp_lt_i32_e64 s[14:15], v8, v9
	s_and_b64 vcc, vcc, s[14:15]
	v_cmp_gt_f32_e64 s[14:15], v7, v10
	v_cndmask_b32_e32 v11, v10, v7, vcc
	s_or_b64 vcc, s[14:15], vcc
	v_cndmask_b32_e64 v7, v11, v7, s[14:15]
	v_cndmask_b32_e32 v8, v9, v8, vcc
	ds_bpermute_b32 v8, v1, v8
	ds_bpermute_b32 v7, v1, v7
	s_and_saveexec_b64 s[14:15], s[16:17]
	s_cbranch_execz .LBB23_18
; %bb.17:                               ;   in Loop: Header=BB23_6 Depth=1
	s_waitcnt lgkmcnt(0)
	ds_write2_b32 v2, v8, v7 offset1:1
.LBB23_18:                              ;   in Loop: Header=BB23_6 Depth=1
	s_or_b64 exec, exec, s[14:15]
	s_waitcnt lgkmcnt(0)
	s_barrier
	s_and_saveexec_b64 s[46:47], s[10:11]
	s_cbranch_execz .LBB23_20
; %bb.19:                               ;   in Loop: Header=BB23_6 Depth=1
	ds_read2_b32 v[8:9], v3 offset1:1
	s_waitcnt lgkmcnt(0)
	ds_bpermute_b32 v7, v4, v9
	ds_bpermute_b32 v10, v4, v8
	s_waitcnt lgkmcnt(1)
	v_cmp_eq_f32_e64 s[14:15], v9, v7
	s_waitcnt lgkmcnt(0)
	v_cmp_lt_i32_e64 s[18:19], v10, v8
	v_cmp_lt_f32_e32 vcc, v9, v7
	s_and_b64 s[14:15], s[14:15], s[18:19]
	s_or_b64 vcc, vcc, s[14:15]
	v_cndmask_b32_e32 v7, v9, v7, vcc
	v_cndmask_b32_e32 v8, v8, v10, vcc
	ds_bpermute_b32 v9, v5, v7
	ds_bpermute_b32 v10, v5, v8
	s_waitcnt lgkmcnt(1)
	v_cmp_eq_f32_e64 s[14:15], v7, v9
	s_waitcnt lgkmcnt(0)
	v_cmp_lt_i32_e64 s[18:19], v10, v8
	v_cmp_lt_f32_e32 vcc, v7, v9
	s_and_b64 s[14:15], s[14:15], s[18:19]
	s_or_b64 vcc, vcc, s[14:15]
	v_cndmask_b32_e32 v7, v7, v9, vcc
	v_cndmask_b32_e32 v8, v8, v10, vcc
.LBB23_20:                              ;   in Loop: Header=BB23_6 Depth=1
	s_or_b64 exec, exec, s[46:47]
	s_mov_b64 s[18:19], -1
	s_mov_b64 s[14:15], -1
                                        ; implicit-def: $sgpr50_sgpr51
	s_and_saveexec_b64 s[46:47], s[12:13]
	s_cbranch_execz .LBB23_24
; %bb.21:                               ;   in Loop: Header=BB23_6 Depth=1
	v_cmp_le_i32_e32 vcc, s30, v8
	v_cmp_gt_i32_e64 s[14:15], s31, v8
	s_and_b64 s[48:49], vcc, s[14:15]
	s_add_i32 s14, s52, s36
	s_ashr_i32 s15, s14, 31
	s_lshl_b64 s[14:15], s[14:15], 2
	s_and_b64 vcc, s[22:23], s[48:49]
	s_add_u32 s48, s24, s14
	s_addc_u32 s49, s25, s15
	v_subrev_u32_e32 v8, s30, v8
	v_mov_b32_e32 v9, s28
	global_store_dword v6, v7, s[48:49]
	s_add_u32 s48, s26, s14
	v_cndmask_b32_e32 v7, v9, v8, vcc
	s_addc_u32 s49, s27, s15
	global_store_dword v6, v7, s[48:49]
	v_cmp_lt_i32_e32 vcc, -1, v7
	s_mov_b64 s[48:49], 0
	s_and_saveexec_b64 s[50:51], vcc
	s_cbranch_execz .LBB23_23
; %bb.22:                               ;   in Loop: Header=BB23_6 Depth=1
	s_mul_i32 s37, s52, s9
	s_add_i32 s37, s37, s8
	s_add_u32 s14, s34, s14
	s_mov_b64 s[48:49], exec
	s_addc_u32 s15, s35, s15
	v_mov_b32_e32 v7, s37
	global_store_dword v6, v7, s[14:15]
.LBB23_23:                              ;   in Loop: Header=BB23_6 Depth=1
	s_or_b64 exec, exec, s[50:51]
	s_mov_b64 s[50:51], -1
	s_orn2_b64 s[14:15], s[48:49], exec
.LBB23_24:                              ;   in Loop: Header=BB23_6 Depth=1
	s_or_b64 exec, exec, s[46:47]
	s_andn2_b64 s[44:45], s[44:45], exec
	s_and_b64 s[46:47], s[50:51], exec
	s_or_b64 s[44:45], s[44:45], s[46:47]
	s_and_saveexec_b64 s[46:47], s[14:15]
	s_cbranch_execz .LBB23_5
; %bb.25:                               ;   in Loop: Header=BB23_6 Depth=1
	s_add_i32 s52, s52, 1
	s_cmp_eq_u32 s52, s29
	s_cselect_b64 s[14:15], -1, 0
	s_andn2_b64 s[44:45], s[44:45], exec
	s_orn2_b64 s[18:19], s[14:15], exec
	s_barrier
	s_branch .LBB23_5
.LBB23_26:
	s_or_b64 exec, exec, s[40:41]
	s_and_saveexec_b64 s[6:7], s[42:43]
	s_xor_b64 s[6:7], exec, s[6:7]
	s_cbranch_execz .LBB23_2
; %bb.27:
	s_add_u32 s8, s4, 56
	s_addc_u32 s9, s5, 0
	s_getpc_b64 s[4:5]
	s_add_u32 s4, s4, __PRETTY_FUNCTION__._ZN4vllm3moe7moeTopKILi256EiEEvPKfPKbPfPT0_Piiiii@rel32@lo+4
	s_addc_u32 s5, s5, __PRETTY_FUNCTION__._ZN4vllm3moe7moeTopKILi256EiEEvPKfPKbPfPT0_Piiiii@rel32@hi+12
	v_mov_b32_e32 v0, s4
	v_mov_b32_e32 v1, s5
	s_getpc_b64 s[6:7]
	s_add_u32 s6, s6, __assert_fail@rel32@lo+4
	s_addc_u32 s7, s7, __assert_fail@rel32@hi+12
	s_swappc_b64 s[30:31], s[6:7]
	; divergent unreachable
	s_endpgm
	.section	.rodata,"a",@progbits
	.p2align	6, 0x0
	.amdhsa_kernel _ZN4vllm3moe7moeTopKILi256EiEEvPKfPKbPfPT0_Piiiii
		.amdhsa_group_segment_fixed_size 32
		.amdhsa_private_segment_fixed_size 64
		.amdhsa_kernarg_size 312
		.amdhsa_user_sgpr_count 8
		.amdhsa_user_sgpr_private_segment_buffer 1
		.amdhsa_user_sgpr_dispatch_ptr 0
		.amdhsa_user_sgpr_queue_ptr 0
		.amdhsa_user_sgpr_kernarg_segment_ptr 1
		.amdhsa_user_sgpr_dispatch_id 0
		.amdhsa_user_sgpr_flat_scratch_init 1
		.amdhsa_user_sgpr_kernarg_preload_length 0
		.amdhsa_user_sgpr_kernarg_preload_offset 0
		.amdhsa_user_sgpr_private_segment_size 0
		.amdhsa_uses_dynamic_stack 0
		.amdhsa_system_sgpr_private_segment_wavefront_offset 1
		.amdhsa_system_sgpr_workgroup_id_x 1
		.amdhsa_system_sgpr_workgroup_id_y 0
		.amdhsa_system_sgpr_workgroup_id_z 0
		.amdhsa_system_sgpr_workgroup_info 0
		.amdhsa_system_vgpr_workitem_id 0
		.amdhsa_next_free_vgpr 41
		.amdhsa_next_free_sgpr 53
		.amdhsa_accum_offset 44
		.amdhsa_reserve_vcc 1
		.amdhsa_reserve_flat_scratch 1
		.amdhsa_float_round_mode_32 0
		.amdhsa_float_round_mode_16_64 0
		.amdhsa_float_denorm_mode_32 3
		.amdhsa_float_denorm_mode_16_64 3
		.amdhsa_dx10_clamp 1
		.amdhsa_ieee_mode 1
		.amdhsa_fp16_overflow 0
		.amdhsa_tg_split 0
		.amdhsa_exception_fp_ieee_invalid_op 0
		.amdhsa_exception_fp_denorm_src 0
		.amdhsa_exception_fp_ieee_div_zero 0
		.amdhsa_exception_fp_ieee_overflow 0
		.amdhsa_exception_fp_ieee_underflow 0
		.amdhsa_exception_fp_ieee_inexact 0
		.amdhsa_exception_int_div_zero 0
	.end_amdhsa_kernel
	.section	.text._ZN4vllm3moe7moeTopKILi256EiEEvPKfPKbPfPT0_Piiiii,"axG",@progbits,_ZN4vllm3moe7moeTopKILi256EiEEvPKfPKbPfPT0_Piiiii,comdat
.Lfunc_end23:
	.size	_ZN4vllm3moe7moeTopKILi256EiEEvPKfPKbPfPT0_Piiiii, .Lfunc_end23-_ZN4vllm3moe7moeTopKILi256EiEEvPKfPKbPfPT0_Piiiii
                                        ; -- End function
	.section	.AMDGPU.csdata,"",@progbits
; Kernel info:
; codeLenInByte = 1448
; NumSgprs: 59
; NumVgprs: 41
; NumAgprs: 0
; TotalNumVgprs: 41
; ScratchSize: 64
; MemoryBound: 0
; FloatMode: 240
; IeeeMode: 1
; LDSByteSize: 32 bytes/workgroup (compile time only)
; SGPRBlocks: 7
; VGPRBlocks: 5
; NumSGPRsForWavesPerEU: 59
; NumVGPRsForWavesPerEU: 41
; AccumOffset: 44
; Occupancy: 8
; WaveLimiterHint : 1
; COMPUTE_PGM_RSRC2:SCRATCH_EN: 1
; COMPUTE_PGM_RSRC2:USER_SGPR: 8
; COMPUTE_PGM_RSRC2:TRAP_HANDLER: 0
; COMPUTE_PGM_RSRC2:TGID_X_EN: 1
; COMPUTE_PGM_RSRC2:TGID_Y_EN: 0
; COMPUTE_PGM_RSRC2:TGID_Z_EN: 0
; COMPUTE_PGM_RSRC2:TIDIG_COMP_CNT: 0
; COMPUTE_PGM_RSRC3_GFX90A:ACCUM_OFFSET: 10
; COMPUTE_PGM_RSRC3_GFX90A:TG_SPLIT: 0
	.section	.text._ZN4vllm3moe17topkGatingSoftmaxILi1ELi1ELi4ELi4ELi64EjEEvPKfPKbPfiPT4_Piiii,"axG",@progbits,_ZN4vllm3moe17topkGatingSoftmaxILi1ELi1ELi4ELi4ELi64EjEEvPKfPKbPfiPT4_Piiii,comdat
	.protected	_ZN4vllm3moe17topkGatingSoftmaxILi1ELi1ELi4ELi4ELi64EjEEvPKfPKbPfiPT4_Piiii ; -- Begin function _ZN4vllm3moe17topkGatingSoftmaxILi1ELi1ELi4ELi4ELi64EjEEvPKfPKbPfiPT4_Piiii
	.globl	_ZN4vllm3moe17topkGatingSoftmaxILi1ELi1ELi4ELi4ELi64EjEEvPKfPKbPfiPT4_Piiii
	.p2align	8
	.type	_ZN4vllm3moe17topkGatingSoftmaxILi1ELi1ELi4ELi4ELi64EjEEvPKfPKbPfiPT4_Piiii,@function
_ZN4vllm3moe17topkGatingSoftmaxILi1ELi1ELi4ELi4ELi64EjEEvPKfPKbPfiPT4_Piiii: ; @_ZN4vllm3moe17topkGatingSoftmaxILi1ELi1ELi4ELi4ELi64EjEEvPKfPKbPfiPT4_Piiii
; %bb.0:
	s_load_dword s12, s[4:5], 0x18
	v_bfe_u32 v1, v0, 10, 10
	s_lshl_b32 s0, s6, 8
	v_lshlrev_b32_e32 v1, 6, v1
	v_and_b32_e32 v0, 0x3ff, v0
	v_add3_u32 v0, v1, v0, s0
	s_waitcnt lgkmcnt(0)
	v_cmp_gt_i32_e32 vcc, s12, v0
	s_and_saveexec_b64 s[0:1], vcc
	s_cbranch_execz .LBB24_6
; %bb.1:
	s_load_dwordx4 s[8:11], s[4:5], 0x0
	v_ashrrev_i32_e32 v1, 31, v0
	s_waitcnt lgkmcnt(0)
	s_cmp_eq_u64 s[10:11], 0
	s_cbranch_scc1 .LBB24_3
; %bb.2:
	v_mov_b32_e32 v3, s11
	v_add_co_u32_e32 v2, vcc, s10, v0
	v_addc_co_u32_e32 v3, vcc, v3, v1, vcc
	global_load_ubyte v2, v[2:3], off
	s_waitcnt vmcnt(0)
	v_and_b32_e32 v2, 1, v2
	v_cmp_eq_u32_e32 vcc, 1, v2
	s_xor_b64 s[0:1], vcc, -1
	s_orn2_b64 s[6:7], s[0:1], exec
	s_load_dwordx4 s[0:3], s[4:5], 0x30
	s_waitcnt lgkmcnt(0)
	s_cmp_lt_i32 s0, 1
	s_cbranch_scc0 .LBB24_4
	s_branch .LBB24_6
.LBB24_3:
	s_mov_b64 s[6:7], -1
	s_load_dwordx4 s[0:3], s[4:5], 0x30
	s_waitcnt lgkmcnt(0)
	s_cmp_lt_i32 s0, 1
	s_cbranch_scc1 .LBB24_6
.LBB24_4:
	v_lshlrev_b64 v[2:3], 2, v[0:1]
	v_mov_b32_e32 v1, s9
	v_add_co_u32_e32 v2, vcc, s8, v2
	v_addc_co_u32_e32 v3, vcc, v1, v3, vcc
	global_load_dword v4, v[2:3], off
	s_cmp_lt_i32 s1, 1
	s_load_dwordx2 s[14:15], s[4:5], 0x10
	s_load_dwordx4 s[8:11], s[4:5], 0x20
	s_mov_b32 s13, 0x3fb8aa3b
	s_cselect_b64 s[4:5], -1, 0
	s_cmp_gt_i32 s2, 0
	v_mul_lo_u32 v2, v0, s0
	s_cselect_b64 s[16:17], -1, 0
	v_ashrrev_i32_e32 v3, 31, v2
	s_sub_i32 s1, 0, s1
	s_and_b64 s[4:5], s[4:5], s[16:17]
	v_lshlrev_b64 v[6:7], 2, v[2:3]
	v_mov_b32_e32 v1, s1
	s_and_b64 vcc, s[6:7], s[4:5]
	v_cndmask_b32_e32 v1, 1, v1, vcc
	s_waitcnt lgkmcnt(0)
	v_mov_b32_e32 v3, s15
	v_add_co_u32_e32 v2, vcc, s14, v6
	v_addc_co_u32_e32 v3, vcc, v3, v7, vcc
	v_mov_b32_e32 v5, s9
	s_mov_b32 s18, 0xc2ce8ed0
	s_mov_b32 s19, 0x42b17218
	v_mov_b32_e32 v8, 0x7f800000
	v_mov_b32_e32 v9, s11
	s_mov_b32 s3, 0
	s_waitcnt vmcnt(0)
	v_sub_f32_e32 v10, v4, v4
	v_mul_f32_e32 v4, 0x3fb8aa3b, v10
	v_fma_f32 v11, v10, s13, -v4
	v_rndne_f32_e32 v12, v4
	v_fmac_f32_e32 v11, 0x32a5705f, v10
	v_sub_f32_e32 v4, v4, v12
	v_add_f32_e32 v4, v4, v11
	v_cvt_i32_f32_e32 v12, v12
	v_exp_f32_e32 v11, v4
	v_add_co_u32_e32 v4, vcc, s8, v6
	v_addc_co_u32_e32 v5, vcc, v5, v7, vcc
	v_ldexp_f32 v11, v11, v12
	v_cmp_ngt_f32_e32 vcc, s18, v10
	v_cndmask_b32_e32 v11, 0, v11, vcc
	v_cmp_nlt_f32_e32 vcc, s19, v10
	v_cndmask_b32_e32 v8, v8, v11, vcc
	v_div_scale_f32 v10, s[4:5], v8, v8, 1.0
	v_rcp_f32_e32 v11, v10
	v_add_co_u32_e32 v6, vcc, s10, v6
	v_addc_co_u32_e32 v7, vcc, v9, v7, vcc
	v_fma_f32 v12, -v10, v11, 1.0
	v_div_scale_f32 v9, vcc, 1.0, v8, 1.0
	v_fmac_f32_e32 v11, v12, v11
	v_mul_f32_e32 v12, v9, v11
	v_fma_f32 v13, -v10, v12, v9
	v_fmac_f32_e32 v12, v13, v11
	v_fma_f32 v9, -v10, v12, v9
	v_div_fmas_f32 v9, v9, v11, v12
	v_div_fixup_f32 v9, v9, v8, 1.0
	v_mul_f32_e32 v8, v8, v9
	v_mov_b32_e32 v9, 0xc61c4000
.LBB24_5:                               ; =>This Inner Loop Header: Depth=1
	global_store_dword v[2:3], v8, off
	global_store_dword v[4:5], v1, off
	;; [unrolled: 1-line block ×3, first 2 shown]
	v_add_co_u32_e32 v2, vcc, 4, v2
	v_addc_co_u32_e32 v3, vcc, 0, v3, vcc
	v_add_co_u32_e32 v4, vcc, 4, v4
	v_addc_co_u32_e32 v5, vcc, 0, v5, vcc
	s_add_i32 s3, s3, 1
	v_add_co_u32_e32 v6, vcc, 4, v6
	v_addc_co_u32_e32 v7, vcc, 0, v7, vcc
	s_cmp_ge_i32 s3, s0
	s_cselect_b64 vcc, -1, 0
	v_add_u32_e32 v0, s12, v0
	s_cmp_lg_u32 s0, s3
	v_cndmask_b32_e32 v8, v9, v8, vcc
	s_cbranch_scc1 .LBB24_5
.LBB24_6:
	s_endpgm
	.section	.rodata,"a",@progbits
	.p2align	6, 0x0
	.amdhsa_kernel _ZN4vllm3moe17topkGatingSoftmaxILi1ELi1ELi4ELi4ELi64EjEEvPKfPKbPfiPT4_Piiii
		.amdhsa_group_segment_fixed_size 0
		.amdhsa_private_segment_fixed_size 0
		.amdhsa_kernarg_size 60
		.amdhsa_user_sgpr_count 6
		.amdhsa_user_sgpr_private_segment_buffer 1
		.amdhsa_user_sgpr_dispatch_ptr 0
		.amdhsa_user_sgpr_queue_ptr 0
		.amdhsa_user_sgpr_kernarg_segment_ptr 1
		.amdhsa_user_sgpr_dispatch_id 0
		.amdhsa_user_sgpr_flat_scratch_init 0
		.amdhsa_user_sgpr_kernarg_preload_length 0
		.amdhsa_user_sgpr_kernarg_preload_offset 0
		.amdhsa_user_sgpr_private_segment_size 0
		.amdhsa_uses_dynamic_stack 0
		.amdhsa_system_sgpr_private_segment_wavefront_offset 0
		.amdhsa_system_sgpr_workgroup_id_x 1
		.amdhsa_system_sgpr_workgroup_id_y 0
		.amdhsa_system_sgpr_workgroup_id_z 0
		.amdhsa_system_sgpr_workgroup_info 0
		.amdhsa_system_vgpr_workitem_id 1
		.amdhsa_next_free_vgpr 14
		.amdhsa_next_free_sgpr 20
		.amdhsa_accum_offset 16
		.amdhsa_reserve_vcc 1
		.amdhsa_reserve_flat_scratch 0
		.amdhsa_float_round_mode_32 0
		.amdhsa_float_round_mode_16_64 0
		.amdhsa_float_denorm_mode_32 3
		.amdhsa_float_denorm_mode_16_64 3
		.amdhsa_dx10_clamp 1
		.amdhsa_ieee_mode 1
		.amdhsa_fp16_overflow 0
		.amdhsa_tg_split 0
		.amdhsa_exception_fp_ieee_invalid_op 0
		.amdhsa_exception_fp_denorm_src 0
		.amdhsa_exception_fp_ieee_div_zero 0
		.amdhsa_exception_fp_ieee_overflow 0
		.amdhsa_exception_fp_ieee_underflow 0
		.amdhsa_exception_fp_ieee_inexact 0
		.amdhsa_exception_int_div_zero 0
	.end_amdhsa_kernel
	.section	.text._ZN4vllm3moe17topkGatingSoftmaxILi1ELi1ELi4ELi4ELi64EjEEvPKfPKbPfiPT4_Piiii,"axG",@progbits,_ZN4vllm3moe17topkGatingSoftmaxILi1ELi1ELi4ELi4ELi64EjEEvPKfPKbPfiPT4_Piiii,comdat
.Lfunc_end24:
	.size	_ZN4vllm3moe17topkGatingSoftmaxILi1ELi1ELi4ELi4ELi64EjEEvPKfPKbPfiPT4_Piiii, .Lfunc_end24-_ZN4vllm3moe17topkGatingSoftmaxILi1ELi1ELi4ELi4ELi64EjEEvPKfPKbPfiPT4_Piiii
                                        ; -- End function
	.section	.AMDGPU.csdata,"",@progbits
; Kernel info:
; codeLenInByte = 584
; NumSgprs: 24
; NumVgprs: 14
; NumAgprs: 0
; TotalNumVgprs: 14
; ScratchSize: 0
; MemoryBound: 0
; FloatMode: 240
; IeeeMode: 1
; LDSByteSize: 0 bytes/workgroup (compile time only)
; SGPRBlocks: 2
; VGPRBlocks: 1
; NumSGPRsForWavesPerEU: 24
; NumVGPRsForWavesPerEU: 14
; AccumOffset: 16
; Occupancy: 8
; WaveLimiterHint : 0
; COMPUTE_PGM_RSRC2:SCRATCH_EN: 0
; COMPUTE_PGM_RSRC2:USER_SGPR: 6
; COMPUTE_PGM_RSRC2:TRAP_HANDLER: 0
; COMPUTE_PGM_RSRC2:TGID_X_EN: 1
; COMPUTE_PGM_RSRC2:TGID_Y_EN: 0
; COMPUTE_PGM_RSRC2:TGID_Z_EN: 0
; COMPUTE_PGM_RSRC2:TIDIG_COMP_CNT: 1
; COMPUTE_PGM_RSRC3_GFX90A:ACCUM_OFFSET: 3
; COMPUTE_PGM_RSRC3_GFX90A:TG_SPLIT: 0
	.section	.text._ZN4vllm3moe17topkGatingSoftmaxILi1ELi1ELi4ELi4ELi32EjEEvPKfPKbPfiPT4_Piiii,"axG",@progbits,_ZN4vllm3moe17topkGatingSoftmaxILi1ELi1ELi4ELi4ELi32EjEEvPKfPKbPfiPT4_Piiii,comdat
	.protected	_ZN4vllm3moe17topkGatingSoftmaxILi1ELi1ELi4ELi4ELi32EjEEvPKfPKbPfiPT4_Piiii ; -- Begin function _ZN4vllm3moe17topkGatingSoftmaxILi1ELi1ELi4ELi4ELi32EjEEvPKfPKbPfiPT4_Piiii
	.globl	_ZN4vllm3moe17topkGatingSoftmaxILi1ELi1ELi4ELi4ELi32EjEEvPKfPKbPfiPT4_Piiii
	.p2align	8
	.type	_ZN4vllm3moe17topkGatingSoftmaxILi1ELi1ELi4ELi4ELi32EjEEvPKfPKbPfiPT4_Piiii,@function
_ZN4vllm3moe17topkGatingSoftmaxILi1ELi1ELi4ELi4ELi32EjEEvPKfPKbPfiPT4_Piiii: ; @_ZN4vllm3moe17topkGatingSoftmaxILi1ELi1ELi4ELi4ELi32EjEEvPKfPKbPfiPT4_Piiii
; %bb.0:
	s_load_dword s12, s[4:5], 0x18
	v_bfe_u32 v1, v0, 10, 10
	s_lshl_b32 s0, s6, 7
	v_lshlrev_b32_e32 v1, 5, v1
	v_and_b32_e32 v0, 0x3ff, v0
	v_add3_u32 v0, v1, v0, s0
	s_waitcnt lgkmcnt(0)
	v_cmp_gt_i32_e32 vcc, s12, v0
	s_and_saveexec_b64 s[0:1], vcc
	s_cbranch_execz .LBB25_6
; %bb.1:
	s_load_dwordx4 s[8:11], s[4:5], 0x0
	v_ashrrev_i32_e32 v1, 31, v0
	s_waitcnt lgkmcnt(0)
	s_cmp_eq_u64 s[10:11], 0
	s_cbranch_scc1 .LBB25_3
; %bb.2:
	v_mov_b32_e32 v3, s11
	v_add_co_u32_e32 v2, vcc, s10, v0
	v_addc_co_u32_e32 v3, vcc, v3, v1, vcc
	global_load_ubyte v2, v[2:3], off
	s_waitcnt vmcnt(0)
	v_and_b32_e32 v2, 1, v2
	v_cmp_eq_u32_e32 vcc, 1, v2
	s_xor_b64 s[0:1], vcc, -1
	s_orn2_b64 s[6:7], s[0:1], exec
	s_load_dwordx4 s[0:3], s[4:5], 0x30
	s_waitcnt lgkmcnt(0)
	s_cmp_lt_i32 s0, 1
	s_cbranch_scc0 .LBB25_4
	s_branch .LBB25_6
.LBB25_3:
	s_mov_b64 s[6:7], -1
	s_load_dwordx4 s[0:3], s[4:5], 0x30
	s_waitcnt lgkmcnt(0)
	s_cmp_lt_i32 s0, 1
	s_cbranch_scc1 .LBB25_6
.LBB25_4:
	v_lshlrev_b64 v[2:3], 2, v[0:1]
	v_mov_b32_e32 v1, s9
	v_add_co_u32_e32 v2, vcc, s8, v2
	v_addc_co_u32_e32 v3, vcc, v1, v3, vcc
	global_load_dword v4, v[2:3], off
	s_cmp_lt_i32 s1, 1
	s_load_dwordx2 s[14:15], s[4:5], 0x10
	s_load_dwordx4 s[8:11], s[4:5], 0x20
	s_mov_b32 s13, 0x3fb8aa3b
	s_cselect_b64 s[4:5], -1, 0
	s_cmp_gt_i32 s2, 0
	v_mul_lo_u32 v2, v0, s0
	s_cselect_b64 s[16:17], -1, 0
	v_ashrrev_i32_e32 v3, 31, v2
	s_sub_i32 s1, 0, s1
	s_and_b64 s[4:5], s[4:5], s[16:17]
	v_lshlrev_b64 v[6:7], 2, v[2:3]
	v_mov_b32_e32 v1, s1
	s_and_b64 vcc, s[6:7], s[4:5]
	v_cndmask_b32_e32 v1, 1, v1, vcc
	s_waitcnt lgkmcnt(0)
	v_mov_b32_e32 v3, s15
	v_add_co_u32_e32 v2, vcc, s14, v6
	v_addc_co_u32_e32 v3, vcc, v3, v7, vcc
	v_mov_b32_e32 v5, s9
	s_mov_b32 s18, 0xc2ce8ed0
	s_mov_b32 s19, 0x42b17218
	v_mov_b32_e32 v8, 0x7f800000
	v_mov_b32_e32 v9, s11
	s_mov_b32 s3, 0
	s_waitcnt vmcnt(0)
	v_sub_f32_e32 v10, v4, v4
	v_mul_f32_e32 v4, 0x3fb8aa3b, v10
	v_fma_f32 v11, v10, s13, -v4
	v_rndne_f32_e32 v12, v4
	v_fmac_f32_e32 v11, 0x32a5705f, v10
	v_sub_f32_e32 v4, v4, v12
	v_add_f32_e32 v4, v4, v11
	v_cvt_i32_f32_e32 v12, v12
	v_exp_f32_e32 v11, v4
	v_add_co_u32_e32 v4, vcc, s8, v6
	v_addc_co_u32_e32 v5, vcc, v5, v7, vcc
	v_ldexp_f32 v11, v11, v12
	v_cmp_ngt_f32_e32 vcc, s18, v10
	v_cndmask_b32_e32 v11, 0, v11, vcc
	v_cmp_nlt_f32_e32 vcc, s19, v10
	v_cndmask_b32_e32 v8, v8, v11, vcc
	v_div_scale_f32 v10, s[4:5], v8, v8, 1.0
	v_rcp_f32_e32 v11, v10
	v_add_co_u32_e32 v6, vcc, s10, v6
	v_addc_co_u32_e32 v7, vcc, v9, v7, vcc
	v_fma_f32 v12, -v10, v11, 1.0
	v_div_scale_f32 v9, vcc, 1.0, v8, 1.0
	v_fmac_f32_e32 v11, v12, v11
	v_mul_f32_e32 v12, v9, v11
	v_fma_f32 v13, -v10, v12, v9
	v_fmac_f32_e32 v12, v13, v11
	v_fma_f32 v9, -v10, v12, v9
	v_div_fmas_f32 v9, v9, v11, v12
	v_div_fixup_f32 v9, v9, v8, 1.0
	v_mul_f32_e32 v8, v8, v9
	v_mov_b32_e32 v9, 0xc61c4000
.LBB25_5:                               ; =>This Inner Loop Header: Depth=1
	global_store_dword v[2:3], v8, off
	global_store_dword v[4:5], v1, off
	;; [unrolled: 1-line block ×3, first 2 shown]
	v_add_co_u32_e32 v2, vcc, 4, v2
	v_addc_co_u32_e32 v3, vcc, 0, v3, vcc
	v_add_co_u32_e32 v4, vcc, 4, v4
	v_addc_co_u32_e32 v5, vcc, 0, v5, vcc
	s_add_i32 s3, s3, 1
	v_add_co_u32_e32 v6, vcc, 4, v6
	v_addc_co_u32_e32 v7, vcc, 0, v7, vcc
	s_cmp_ge_i32 s3, s0
	s_cselect_b64 vcc, -1, 0
	v_add_u32_e32 v0, s12, v0
	s_cmp_lg_u32 s0, s3
	v_cndmask_b32_e32 v8, v9, v8, vcc
	s_cbranch_scc1 .LBB25_5
.LBB25_6:
	s_endpgm
	.section	.rodata,"a",@progbits
	.p2align	6, 0x0
	.amdhsa_kernel _ZN4vllm3moe17topkGatingSoftmaxILi1ELi1ELi4ELi4ELi32EjEEvPKfPKbPfiPT4_Piiii
		.amdhsa_group_segment_fixed_size 0
		.amdhsa_private_segment_fixed_size 0
		.amdhsa_kernarg_size 60
		.amdhsa_user_sgpr_count 6
		.amdhsa_user_sgpr_private_segment_buffer 1
		.amdhsa_user_sgpr_dispatch_ptr 0
		.amdhsa_user_sgpr_queue_ptr 0
		.amdhsa_user_sgpr_kernarg_segment_ptr 1
		.amdhsa_user_sgpr_dispatch_id 0
		.amdhsa_user_sgpr_flat_scratch_init 0
		.amdhsa_user_sgpr_kernarg_preload_length 0
		.amdhsa_user_sgpr_kernarg_preload_offset 0
		.amdhsa_user_sgpr_private_segment_size 0
		.amdhsa_uses_dynamic_stack 0
		.amdhsa_system_sgpr_private_segment_wavefront_offset 0
		.amdhsa_system_sgpr_workgroup_id_x 1
		.amdhsa_system_sgpr_workgroup_id_y 0
		.amdhsa_system_sgpr_workgroup_id_z 0
		.amdhsa_system_sgpr_workgroup_info 0
		.amdhsa_system_vgpr_workitem_id 1
		.amdhsa_next_free_vgpr 14
		.amdhsa_next_free_sgpr 20
		.amdhsa_accum_offset 16
		.amdhsa_reserve_vcc 1
		.amdhsa_reserve_flat_scratch 0
		.amdhsa_float_round_mode_32 0
		.amdhsa_float_round_mode_16_64 0
		.amdhsa_float_denorm_mode_32 3
		.amdhsa_float_denorm_mode_16_64 3
		.amdhsa_dx10_clamp 1
		.amdhsa_ieee_mode 1
		.amdhsa_fp16_overflow 0
		.amdhsa_tg_split 0
		.amdhsa_exception_fp_ieee_invalid_op 0
		.amdhsa_exception_fp_denorm_src 0
		.amdhsa_exception_fp_ieee_div_zero 0
		.amdhsa_exception_fp_ieee_overflow 0
		.amdhsa_exception_fp_ieee_underflow 0
		.amdhsa_exception_fp_ieee_inexact 0
		.amdhsa_exception_int_div_zero 0
	.end_amdhsa_kernel
	.section	.text._ZN4vllm3moe17topkGatingSoftmaxILi1ELi1ELi4ELi4ELi32EjEEvPKfPKbPfiPT4_Piiii,"axG",@progbits,_ZN4vllm3moe17topkGatingSoftmaxILi1ELi1ELi4ELi4ELi32EjEEvPKfPKbPfiPT4_Piiii,comdat
.Lfunc_end25:
	.size	_ZN4vllm3moe17topkGatingSoftmaxILi1ELi1ELi4ELi4ELi32EjEEvPKfPKbPfiPT4_Piiii, .Lfunc_end25-_ZN4vllm3moe17topkGatingSoftmaxILi1ELi1ELi4ELi4ELi32EjEEvPKfPKbPfiPT4_Piiii
                                        ; -- End function
	.section	.AMDGPU.csdata,"",@progbits
; Kernel info:
; codeLenInByte = 584
; NumSgprs: 24
; NumVgprs: 14
; NumAgprs: 0
; TotalNumVgprs: 14
; ScratchSize: 0
; MemoryBound: 0
; FloatMode: 240
; IeeeMode: 1
; LDSByteSize: 0 bytes/workgroup (compile time only)
; SGPRBlocks: 2
; VGPRBlocks: 1
; NumSGPRsForWavesPerEU: 24
; NumVGPRsForWavesPerEU: 14
; AccumOffset: 16
; Occupancy: 8
; WaveLimiterHint : 0
; COMPUTE_PGM_RSRC2:SCRATCH_EN: 0
; COMPUTE_PGM_RSRC2:USER_SGPR: 6
; COMPUTE_PGM_RSRC2:TRAP_HANDLER: 0
; COMPUTE_PGM_RSRC2:TGID_X_EN: 1
; COMPUTE_PGM_RSRC2:TGID_Y_EN: 0
; COMPUTE_PGM_RSRC2:TGID_Z_EN: 0
; COMPUTE_PGM_RSRC2:TIDIG_COMP_CNT: 1
; COMPUTE_PGM_RSRC3_GFX90A:ACCUM_OFFSET: 3
; COMPUTE_PGM_RSRC3_GFX90A:TG_SPLIT: 0
	.section	.text._ZN4vllm3moe17topkGatingSoftmaxILi2ELi2ELi4ELi8ELi64EjEEvPKfPKbPfiPT4_Piiii,"axG",@progbits,_ZN4vllm3moe17topkGatingSoftmaxILi2ELi2ELi4ELi8ELi64EjEEvPKfPKbPfiPT4_Piiii,comdat
	.protected	_ZN4vllm3moe17topkGatingSoftmaxILi2ELi2ELi4ELi8ELi64EjEEvPKfPKbPfiPT4_Piiii ; -- Begin function _ZN4vllm3moe17topkGatingSoftmaxILi2ELi2ELi4ELi8ELi64EjEEvPKfPKbPfiPT4_Piiii
	.globl	_ZN4vllm3moe17topkGatingSoftmaxILi2ELi2ELi4ELi8ELi64EjEEvPKfPKbPfiPT4_Piiii
	.p2align	8
	.type	_ZN4vllm3moe17topkGatingSoftmaxILi2ELi2ELi4ELi8ELi64EjEEvPKfPKbPfiPT4_Piiii,@function
_ZN4vllm3moe17topkGatingSoftmaxILi2ELi2ELi4ELi8ELi64EjEEvPKfPKbPfiPT4_Piiii: ; @_ZN4vllm3moe17topkGatingSoftmaxILi2ELi2ELi4ELi8ELi64EjEEvPKfPKbPfiPT4_Piiii
; %bb.0:
	s_load_dword s12, s[4:5], 0x18
	v_bfe_u32 v1, v0, 10, 10
	s_lshl_b32 s0, s6, 8
	v_lshlrev_b32_e32 v1, 6, v1
	v_and_b32_e32 v0, 0x3ff, v0
	v_add3_u32 v8, v1, v0, s0
	s_waitcnt lgkmcnt(0)
	v_cmp_gt_i32_e32 vcc, s12, v8
	s_and_saveexec_b64 s[0:1], vcc
	s_cbranch_execz .LBB26_6
; %bb.1:
	s_load_dwordx4 s[0:3], s[4:5], 0x0
	s_waitcnt lgkmcnt(0)
	s_cmp_eq_u64 s[2:3], 0
	s_cbranch_scc1 .LBB26_3
; %bb.2:
	v_ashrrev_i32_e32 v1, 31, v8
	v_mov_b32_e32 v2, s3
	v_add_co_u32_e32 v0, vcc, s2, v8
	v_addc_co_u32_e32 v1, vcc, v2, v1, vcc
	global_load_ubyte v0, v[0:1], off
	s_waitcnt vmcnt(0)
	v_and_b32_e32 v0, 1, v0
	v_cmp_eq_u32_e32 vcc, 1, v0
	s_xor_b64 s[2:3], vcc, -1
	s_orn2_b64 s[6:7], s[2:3], exec
	s_load_dwordx4 s[8:11], s[4:5], 0x30
	s_waitcnt lgkmcnt(0)
	s_cmp_lt_i32 s8, 1
	s_cbranch_scc0 .LBB26_4
	s_branch .LBB26_6
.LBB26_3:
	s_mov_b64 s[6:7], -1
	s_load_dwordx4 s[8:11], s[4:5], 0x30
	s_waitcnt lgkmcnt(0)
	s_cmp_lt_i32 s8, 1
	s_cbranch_scc1 .LBB26_6
.LBB26_4:
	v_lshlrev_b32_e32 v0, 1, v8
	v_ashrrev_i32_e32 v1, 31, v0
	v_lshlrev_b64 v[0:1], 2, v[0:1]
	v_mov_b32_e32 v2, s1
	v_add_co_u32_e32 v0, vcc, s0, v0
	v_addc_co_u32_e32 v1, vcc, v2, v1, vcc
	global_load_dwordx2 v[2:3], v[0:1], off
	s_load_dwordx2 s[14:15], s[4:5], 0x10
	s_load_dwordx4 s[0:3], s[4:5], 0x20
	s_mov_b32 s5, 0x3fb8aa3b
	v_mul_lo_u32 v0, v8, s8
	v_ashrrev_i32_e32 v1, 31, v0
	v_lshlrev_b64 v[4:5], 2, v[0:1]
	s_waitcnt lgkmcnt(0)
	v_mov_b32_e32 v1, s15
	v_add_co_u32_e32 v0, vcc, s14, v4
	v_addc_co_u32_e32 v1, vcc, v1, v5, vcc
	v_mov_b32_e32 v10, s1
	s_mov_b32 s11, 0xc2ce8ed0
	s_mov_b32 s13, 0x42b17218
	v_mov_b32_e32 v9, 0x7f800000
	v_mov_b32_e32 v11, s3
	s_mov_b32 s4, 0
	s_waitcnt vmcnt(0)
	v_max_f32_e32 v6, v3, v3
	v_max_f32_e32 v7, v2, v2
	;; [unrolled: 1-line block ×3, first 2 shown]
	v_pk_add_f32 v[6:7], v[2:3], v[6:7] op_sel_hi:[1,0] neg_lo:[0,1] neg_hi:[0,1]
	v_mul_f32_e32 v2, 0x3fb8aa3b, v7
	v_mul_f32_e32 v3, 0x3fb8aa3b, v6
	v_fma_f32 v12, v7, s5, -v2
	v_rndne_f32_e32 v13, v2
	v_fma_f32 v14, v6, s5, -v3
	v_rndne_f32_e32 v15, v3
	v_fmac_f32_e32 v12, 0x32a5705f, v7
	v_sub_f32_e32 v2, v2, v13
	v_fmac_f32_e32 v14, 0x32a5705f, v6
	v_sub_f32_e32 v3, v3, v15
	v_add_f32_e32 v2, v2, v12
	v_cvt_i32_f32_e32 v13, v13
	v_add_f32_e32 v3, v3, v14
	v_exp_f32_e32 v12, v2
	v_cvt_i32_f32_e32 v15, v15
	v_exp_f32_e32 v14, v3
	v_add_co_u32_e32 v2, vcc, s0, v4
	v_addc_co_u32_e32 v3, vcc, v10, v5, vcc
	v_ldexp_f32 v10, v12, v13
	v_cmp_ngt_f32_e32 vcc, s11, v7
	v_ldexp_f32 v12, v14, v15
	v_cndmask_b32_e32 v10, 0, v10, vcc
	v_cmp_ngt_f32_e32 vcc, s11, v6
	v_cndmask_b32_e32 v12, 0, v12, vcc
	v_cmp_nlt_f32_e32 vcc, s13, v7
	v_cndmask_b32_e32 v7, v9, v10, vcc
	v_cmp_nlt_f32_e32 vcc, s13, v6
	v_cndmask_b32_e32 v6, v9, v12, vcc
	v_add_f32_e32 v9, v6, v7
	v_div_scale_f32 v10, s[0:1], v9, v9, 1.0
	v_rcp_f32_e32 v12, v10
	v_add_co_u32_e32 v4, vcc, s2, v4
	v_addc_co_u32_e32 v5, vcc, v11, v5, vcc
	v_fma_f32 v13, -v10, v12, 1.0
	v_div_scale_f32 v11, vcc, 1.0, v9, 1.0
	v_fmac_f32_e32 v12, v13, v12
	v_mul_f32_e32 v13, v11, v12
	v_fma_f32 v14, -v10, v13, v11
	v_fmac_f32_e32 v13, v14, v12
	v_fma_f32 v10, -v10, v13, v11
	v_div_fmas_f32 v10, v10, v12, v13
	v_div_fixup_f32 v10, v10, v9, 1.0
	v_pk_mul_f32 v[6:7], v[10:11], v[6:7] op_sel_hi:[0,1]
	v_mov_b32_e32 v9, 0xc61c4000
.LBB26_5:                               ; =>This Inner Loop Header: Depth=1
	v_cmp_gt_f32_e32 vcc, v7, v6
	v_cndmask_b32_e64 v11, 0, 1, vcc
	v_cmp_le_i32_e64 s[0:1], s9, v11
	v_cmp_gt_i32_e64 s[2:3], s10, v11
	v_cndmask_b32_e32 v10, v6, v7, vcc
	s_and_b64 s[0:1], s[0:1], s[2:3]
	global_store_dword v[0:1], v10, off
	v_subrev_u32_e32 v10, s9, v11
	s_and_b64 s[0:1], s[6:7], s[0:1]
	s_add_i32 s4, s4, 1
	v_cndmask_b32_e64 v10, 2, v10, s[0:1]
	s_cmp_lt_i32 s4, s8
	global_store_dword v[2:3], v10, off
	global_store_dword v[4:5], v8, off
	v_cndmask_b32_e32 v10, v9, v6, vcc
	v_cndmask_b32_e32 v11, v7, v9, vcc
	s_cselect_b64 vcc, -1, 0
	v_cndmask_b32_e32 v7, v7, v11, vcc
	v_cndmask_b32_e32 v6, v6, v10, vcc
	v_add_co_u32_e32 v0, vcc, 4, v0
	v_addc_co_u32_e32 v1, vcc, 0, v1, vcc
	v_add_co_u32_e32 v2, vcc, 4, v2
	v_addc_co_u32_e32 v3, vcc, 0, v3, vcc
	v_add_co_u32_e32 v4, vcc, 4, v4
	v_add_u32_e32 v8, s12, v8
	s_cmp_lg_u32 s8, s4
	v_addc_co_u32_e32 v5, vcc, 0, v5, vcc
	s_cbranch_scc1 .LBB26_5
.LBB26_6:
	s_endpgm
	.section	.rodata,"a",@progbits
	.p2align	6, 0x0
	.amdhsa_kernel _ZN4vllm3moe17topkGatingSoftmaxILi2ELi2ELi4ELi8ELi64EjEEvPKfPKbPfiPT4_Piiii
		.amdhsa_group_segment_fixed_size 0
		.amdhsa_private_segment_fixed_size 0
		.amdhsa_kernarg_size 60
		.amdhsa_user_sgpr_count 6
		.amdhsa_user_sgpr_private_segment_buffer 1
		.amdhsa_user_sgpr_dispatch_ptr 0
		.amdhsa_user_sgpr_queue_ptr 0
		.amdhsa_user_sgpr_kernarg_segment_ptr 1
		.amdhsa_user_sgpr_dispatch_id 0
		.amdhsa_user_sgpr_flat_scratch_init 0
		.amdhsa_user_sgpr_kernarg_preload_length 0
		.amdhsa_user_sgpr_kernarg_preload_offset 0
		.amdhsa_user_sgpr_private_segment_size 0
		.amdhsa_uses_dynamic_stack 0
		.amdhsa_system_sgpr_private_segment_wavefront_offset 0
		.amdhsa_system_sgpr_workgroup_id_x 1
		.amdhsa_system_sgpr_workgroup_id_y 0
		.amdhsa_system_sgpr_workgroup_id_z 0
		.amdhsa_system_sgpr_workgroup_info 0
		.amdhsa_system_vgpr_workitem_id 1
		.amdhsa_next_free_vgpr 16
		.amdhsa_next_free_sgpr 16
		.amdhsa_accum_offset 16
		.amdhsa_reserve_vcc 1
		.amdhsa_reserve_flat_scratch 0
		.amdhsa_float_round_mode_32 0
		.amdhsa_float_round_mode_16_64 0
		.amdhsa_float_denorm_mode_32 3
		.amdhsa_float_denorm_mode_16_64 3
		.amdhsa_dx10_clamp 1
		.amdhsa_ieee_mode 1
		.amdhsa_fp16_overflow 0
		.amdhsa_tg_split 0
		.amdhsa_exception_fp_ieee_invalid_op 0
		.amdhsa_exception_fp_denorm_src 0
		.amdhsa_exception_fp_ieee_div_zero 0
		.amdhsa_exception_fp_ieee_overflow 0
		.amdhsa_exception_fp_ieee_underflow 0
		.amdhsa_exception_fp_ieee_inexact 0
		.amdhsa_exception_int_div_zero 0
	.end_amdhsa_kernel
	.section	.text._ZN4vllm3moe17topkGatingSoftmaxILi2ELi2ELi4ELi8ELi64EjEEvPKfPKbPfiPT4_Piiii,"axG",@progbits,_ZN4vllm3moe17topkGatingSoftmaxILi2ELi2ELi4ELi8ELi64EjEEvPKfPKbPfiPT4_Piiii,comdat
.Lfunc_end26:
	.size	_ZN4vllm3moe17topkGatingSoftmaxILi2ELi2ELi4ELi8ELi64EjEEvPKfPKbPfiPT4_Piiii, .Lfunc_end26-_ZN4vllm3moe17topkGatingSoftmaxILi2ELi2ELi4ELi8ELi64EjEEvPKfPKbPfiPT4_Piiii
                                        ; -- End function
	.section	.AMDGPU.csdata,"",@progbits
; Kernel info:
; codeLenInByte = 712
; NumSgprs: 20
; NumVgprs: 16
; NumAgprs: 0
; TotalNumVgprs: 16
; ScratchSize: 0
; MemoryBound: 0
; FloatMode: 240
; IeeeMode: 1
; LDSByteSize: 0 bytes/workgroup (compile time only)
; SGPRBlocks: 2
; VGPRBlocks: 1
; NumSGPRsForWavesPerEU: 20
; NumVGPRsForWavesPerEU: 16
; AccumOffset: 16
; Occupancy: 8
; WaveLimiterHint : 0
; COMPUTE_PGM_RSRC2:SCRATCH_EN: 0
; COMPUTE_PGM_RSRC2:USER_SGPR: 6
; COMPUTE_PGM_RSRC2:TRAP_HANDLER: 0
; COMPUTE_PGM_RSRC2:TGID_X_EN: 1
; COMPUTE_PGM_RSRC2:TGID_Y_EN: 0
; COMPUTE_PGM_RSRC2:TGID_Z_EN: 0
; COMPUTE_PGM_RSRC2:TIDIG_COMP_CNT: 1
; COMPUTE_PGM_RSRC3_GFX90A:ACCUM_OFFSET: 3
; COMPUTE_PGM_RSRC3_GFX90A:TG_SPLIT: 0
	.section	.text._ZN4vllm3moe17topkGatingSoftmaxILi2ELi2ELi4ELi8ELi32EjEEvPKfPKbPfiPT4_Piiii,"axG",@progbits,_ZN4vllm3moe17topkGatingSoftmaxILi2ELi2ELi4ELi8ELi32EjEEvPKfPKbPfiPT4_Piiii,comdat
	.protected	_ZN4vllm3moe17topkGatingSoftmaxILi2ELi2ELi4ELi8ELi32EjEEvPKfPKbPfiPT4_Piiii ; -- Begin function _ZN4vllm3moe17topkGatingSoftmaxILi2ELi2ELi4ELi8ELi32EjEEvPKfPKbPfiPT4_Piiii
	.globl	_ZN4vllm3moe17topkGatingSoftmaxILi2ELi2ELi4ELi8ELi32EjEEvPKfPKbPfiPT4_Piiii
	.p2align	8
	.type	_ZN4vllm3moe17topkGatingSoftmaxILi2ELi2ELi4ELi8ELi32EjEEvPKfPKbPfiPT4_Piiii,@function
_ZN4vllm3moe17topkGatingSoftmaxILi2ELi2ELi4ELi8ELi32EjEEvPKfPKbPfiPT4_Piiii: ; @_ZN4vllm3moe17topkGatingSoftmaxILi2ELi2ELi4ELi8ELi32EjEEvPKfPKbPfiPT4_Piiii
; %bb.0:
	s_load_dword s12, s[4:5], 0x18
	v_bfe_u32 v1, v0, 10, 10
	s_lshl_b32 s0, s6, 7
	v_lshlrev_b32_e32 v1, 5, v1
	v_and_b32_e32 v0, 0x3ff, v0
	v_add3_u32 v8, v1, v0, s0
	s_waitcnt lgkmcnt(0)
	v_cmp_gt_i32_e32 vcc, s12, v8
	s_and_saveexec_b64 s[0:1], vcc
	s_cbranch_execz .LBB27_6
; %bb.1:
	s_load_dwordx4 s[0:3], s[4:5], 0x0
	s_waitcnt lgkmcnt(0)
	s_cmp_eq_u64 s[2:3], 0
	s_cbranch_scc1 .LBB27_3
; %bb.2:
	v_ashrrev_i32_e32 v1, 31, v8
	v_mov_b32_e32 v2, s3
	v_add_co_u32_e32 v0, vcc, s2, v8
	v_addc_co_u32_e32 v1, vcc, v2, v1, vcc
	global_load_ubyte v0, v[0:1], off
	s_waitcnt vmcnt(0)
	v_and_b32_e32 v0, 1, v0
	v_cmp_eq_u32_e32 vcc, 1, v0
	s_xor_b64 s[2:3], vcc, -1
	s_orn2_b64 s[6:7], s[2:3], exec
	s_load_dwordx4 s[8:11], s[4:5], 0x30
	s_waitcnt lgkmcnt(0)
	s_cmp_lt_i32 s8, 1
	s_cbranch_scc0 .LBB27_4
	s_branch .LBB27_6
.LBB27_3:
	s_mov_b64 s[6:7], -1
	s_load_dwordx4 s[8:11], s[4:5], 0x30
	s_waitcnt lgkmcnt(0)
	s_cmp_lt_i32 s8, 1
	s_cbranch_scc1 .LBB27_6
.LBB27_4:
	v_lshlrev_b32_e32 v0, 1, v8
	v_ashrrev_i32_e32 v1, 31, v0
	v_lshlrev_b64 v[0:1], 2, v[0:1]
	v_mov_b32_e32 v2, s1
	v_add_co_u32_e32 v0, vcc, s0, v0
	v_addc_co_u32_e32 v1, vcc, v2, v1, vcc
	global_load_dwordx2 v[2:3], v[0:1], off
	s_load_dwordx2 s[14:15], s[4:5], 0x10
	s_load_dwordx4 s[0:3], s[4:5], 0x20
	s_mov_b32 s5, 0x3fb8aa3b
	v_mul_lo_u32 v0, v8, s8
	v_ashrrev_i32_e32 v1, 31, v0
	v_lshlrev_b64 v[4:5], 2, v[0:1]
	s_waitcnt lgkmcnt(0)
	v_mov_b32_e32 v1, s15
	v_add_co_u32_e32 v0, vcc, s14, v4
	v_addc_co_u32_e32 v1, vcc, v1, v5, vcc
	v_mov_b32_e32 v10, s1
	s_mov_b32 s11, 0xc2ce8ed0
	s_mov_b32 s13, 0x42b17218
	v_mov_b32_e32 v9, 0x7f800000
	v_mov_b32_e32 v11, s3
	s_mov_b32 s4, 0
	s_waitcnt vmcnt(0)
	v_max_f32_e32 v6, v3, v3
	v_max_f32_e32 v7, v2, v2
	;; [unrolled: 1-line block ×3, first 2 shown]
	v_pk_add_f32 v[6:7], v[2:3], v[6:7] op_sel_hi:[1,0] neg_lo:[0,1] neg_hi:[0,1]
	v_mul_f32_e32 v2, 0x3fb8aa3b, v7
	v_mul_f32_e32 v3, 0x3fb8aa3b, v6
	v_fma_f32 v12, v7, s5, -v2
	v_rndne_f32_e32 v13, v2
	v_fma_f32 v14, v6, s5, -v3
	v_rndne_f32_e32 v15, v3
	v_fmac_f32_e32 v12, 0x32a5705f, v7
	v_sub_f32_e32 v2, v2, v13
	v_fmac_f32_e32 v14, 0x32a5705f, v6
	v_sub_f32_e32 v3, v3, v15
	v_add_f32_e32 v2, v2, v12
	v_cvt_i32_f32_e32 v13, v13
	v_add_f32_e32 v3, v3, v14
	v_exp_f32_e32 v12, v2
	v_cvt_i32_f32_e32 v15, v15
	v_exp_f32_e32 v14, v3
	v_add_co_u32_e32 v2, vcc, s0, v4
	v_addc_co_u32_e32 v3, vcc, v10, v5, vcc
	v_ldexp_f32 v10, v12, v13
	v_cmp_ngt_f32_e32 vcc, s11, v7
	v_ldexp_f32 v12, v14, v15
	v_cndmask_b32_e32 v10, 0, v10, vcc
	v_cmp_ngt_f32_e32 vcc, s11, v6
	v_cndmask_b32_e32 v12, 0, v12, vcc
	v_cmp_nlt_f32_e32 vcc, s13, v7
	v_cndmask_b32_e32 v7, v9, v10, vcc
	v_cmp_nlt_f32_e32 vcc, s13, v6
	v_cndmask_b32_e32 v6, v9, v12, vcc
	v_add_f32_e32 v9, v6, v7
	v_div_scale_f32 v10, s[0:1], v9, v9, 1.0
	v_rcp_f32_e32 v12, v10
	v_add_co_u32_e32 v4, vcc, s2, v4
	v_addc_co_u32_e32 v5, vcc, v11, v5, vcc
	v_fma_f32 v13, -v10, v12, 1.0
	v_div_scale_f32 v11, vcc, 1.0, v9, 1.0
	v_fmac_f32_e32 v12, v13, v12
	v_mul_f32_e32 v13, v11, v12
	v_fma_f32 v14, -v10, v13, v11
	v_fmac_f32_e32 v13, v14, v12
	v_fma_f32 v10, -v10, v13, v11
	v_div_fmas_f32 v10, v10, v12, v13
	v_div_fixup_f32 v10, v10, v9, 1.0
	v_pk_mul_f32 v[6:7], v[10:11], v[6:7] op_sel_hi:[0,1]
	v_mov_b32_e32 v9, 0xc61c4000
.LBB27_5:                               ; =>This Inner Loop Header: Depth=1
	v_cmp_gt_f32_e32 vcc, v7, v6
	v_cndmask_b32_e64 v11, 0, 1, vcc
	v_cmp_le_i32_e64 s[0:1], s9, v11
	v_cmp_gt_i32_e64 s[2:3], s10, v11
	v_cndmask_b32_e32 v10, v6, v7, vcc
	s_and_b64 s[0:1], s[0:1], s[2:3]
	global_store_dword v[0:1], v10, off
	v_subrev_u32_e32 v10, s9, v11
	s_and_b64 s[0:1], s[6:7], s[0:1]
	s_add_i32 s4, s4, 1
	v_cndmask_b32_e64 v10, 2, v10, s[0:1]
	s_cmp_lt_i32 s4, s8
	global_store_dword v[2:3], v10, off
	global_store_dword v[4:5], v8, off
	v_cndmask_b32_e32 v10, v9, v6, vcc
	v_cndmask_b32_e32 v11, v7, v9, vcc
	s_cselect_b64 vcc, -1, 0
	v_cndmask_b32_e32 v7, v7, v11, vcc
	v_cndmask_b32_e32 v6, v6, v10, vcc
	v_add_co_u32_e32 v0, vcc, 4, v0
	v_addc_co_u32_e32 v1, vcc, 0, v1, vcc
	v_add_co_u32_e32 v2, vcc, 4, v2
	v_addc_co_u32_e32 v3, vcc, 0, v3, vcc
	v_add_co_u32_e32 v4, vcc, 4, v4
	v_add_u32_e32 v8, s12, v8
	s_cmp_lg_u32 s8, s4
	v_addc_co_u32_e32 v5, vcc, 0, v5, vcc
	s_cbranch_scc1 .LBB27_5
.LBB27_6:
	s_endpgm
	.section	.rodata,"a",@progbits
	.p2align	6, 0x0
	.amdhsa_kernel _ZN4vllm3moe17topkGatingSoftmaxILi2ELi2ELi4ELi8ELi32EjEEvPKfPKbPfiPT4_Piiii
		.amdhsa_group_segment_fixed_size 0
		.amdhsa_private_segment_fixed_size 0
		.amdhsa_kernarg_size 60
		.amdhsa_user_sgpr_count 6
		.amdhsa_user_sgpr_private_segment_buffer 1
		.amdhsa_user_sgpr_dispatch_ptr 0
		.amdhsa_user_sgpr_queue_ptr 0
		.amdhsa_user_sgpr_kernarg_segment_ptr 1
		.amdhsa_user_sgpr_dispatch_id 0
		.amdhsa_user_sgpr_flat_scratch_init 0
		.amdhsa_user_sgpr_kernarg_preload_length 0
		.amdhsa_user_sgpr_kernarg_preload_offset 0
		.amdhsa_user_sgpr_private_segment_size 0
		.amdhsa_uses_dynamic_stack 0
		.amdhsa_system_sgpr_private_segment_wavefront_offset 0
		.amdhsa_system_sgpr_workgroup_id_x 1
		.amdhsa_system_sgpr_workgroup_id_y 0
		.amdhsa_system_sgpr_workgroup_id_z 0
		.amdhsa_system_sgpr_workgroup_info 0
		.amdhsa_system_vgpr_workitem_id 1
		.amdhsa_next_free_vgpr 16
		.amdhsa_next_free_sgpr 16
		.amdhsa_accum_offset 16
		.amdhsa_reserve_vcc 1
		.amdhsa_reserve_flat_scratch 0
		.amdhsa_float_round_mode_32 0
		.amdhsa_float_round_mode_16_64 0
		.amdhsa_float_denorm_mode_32 3
		.amdhsa_float_denorm_mode_16_64 3
		.amdhsa_dx10_clamp 1
		.amdhsa_ieee_mode 1
		.amdhsa_fp16_overflow 0
		.amdhsa_tg_split 0
		.amdhsa_exception_fp_ieee_invalid_op 0
		.amdhsa_exception_fp_denorm_src 0
		.amdhsa_exception_fp_ieee_div_zero 0
		.amdhsa_exception_fp_ieee_overflow 0
		.amdhsa_exception_fp_ieee_underflow 0
		.amdhsa_exception_fp_ieee_inexact 0
		.amdhsa_exception_int_div_zero 0
	.end_amdhsa_kernel
	.section	.text._ZN4vllm3moe17topkGatingSoftmaxILi2ELi2ELi4ELi8ELi32EjEEvPKfPKbPfiPT4_Piiii,"axG",@progbits,_ZN4vllm3moe17topkGatingSoftmaxILi2ELi2ELi4ELi8ELi32EjEEvPKfPKbPfiPT4_Piiii,comdat
.Lfunc_end27:
	.size	_ZN4vllm3moe17topkGatingSoftmaxILi2ELi2ELi4ELi8ELi32EjEEvPKfPKbPfiPT4_Piiii, .Lfunc_end27-_ZN4vllm3moe17topkGatingSoftmaxILi2ELi2ELi4ELi8ELi32EjEEvPKfPKbPfiPT4_Piiii
                                        ; -- End function
	.section	.AMDGPU.csdata,"",@progbits
; Kernel info:
; codeLenInByte = 712
; NumSgprs: 20
; NumVgprs: 16
; NumAgprs: 0
; TotalNumVgprs: 16
; ScratchSize: 0
; MemoryBound: 0
; FloatMode: 240
; IeeeMode: 1
; LDSByteSize: 0 bytes/workgroup (compile time only)
; SGPRBlocks: 2
; VGPRBlocks: 1
; NumSGPRsForWavesPerEU: 20
; NumVGPRsForWavesPerEU: 16
; AccumOffset: 16
; Occupancy: 8
; WaveLimiterHint : 0
; COMPUTE_PGM_RSRC2:SCRATCH_EN: 0
; COMPUTE_PGM_RSRC2:USER_SGPR: 6
; COMPUTE_PGM_RSRC2:TRAP_HANDLER: 0
; COMPUTE_PGM_RSRC2:TGID_X_EN: 1
; COMPUTE_PGM_RSRC2:TGID_Y_EN: 0
; COMPUTE_PGM_RSRC2:TGID_Z_EN: 0
; COMPUTE_PGM_RSRC2:TIDIG_COMP_CNT: 1
; COMPUTE_PGM_RSRC3_GFX90A:ACCUM_OFFSET: 3
; COMPUTE_PGM_RSRC3_GFX90A:TG_SPLIT: 0
	.section	.text._ZN4vllm3moe17topkGatingSoftmaxILi4ELi4ELi4ELi16ELi64EjEEvPKfPKbPfiPT4_Piiii,"axG",@progbits,_ZN4vllm3moe17topkGatingSoftmaxILi4ELi4ELi4ELi16ELi64EjEEvPKfPKbPfiPT4_Piiii,comdat
	.protected	_ZN4vllm3moe17topkGatingSoftmaxILi4ELi4ELi4ELi16ELi64EjEEvPKfPKbPfiPT4_Piiii ; -- Begin function _ZN4vllm3moe17topkGatingSoftmaxILi4ELi4ELi4ELi16ELi64EjEEvPKfPKbPfiPT4_Piiii
	.globl	_ZN4vllm3moe17topkGatingSoftmaxILi4ELi4ELi4ELi16ELi64EjEEvPKfPKbPfiPT4_Piiii
	.p2align	8
	.type	_ZN4vllm3moe17topkGatingSoftmaxILi4ELi4ELi4ELi16ELi64EjEEvPKfPKbPfiPT4_Piiii,@function
_ZN4vllm3moe17topkGatingSoftmaxILi4ELi4ELi4ELi16ELi64EjEEvPKfPKbPfiPT4_Piiii: ; @_ZN4vllm3moe17topkGatingSoftmaxILi4ELi4ELi4ELi16ELi64EjEEvPKfPKbPfiPT4_Piiii
; %bb.0:
	s_load_dword s14, s[6:7], 0x18
	v_bfe_u32 v2, v0, 10, 10
	v_and_b32_e32 v1, 0x3ff, v0
	s_lshl_b32 s0, s8, 8
	v_lshlrev_b32_e32 v3, 6, v2
	v_add3_u32 v6, v3, v1, s0
	s_waitcnt lgkmcnt(0)
	v_cmp_gt_i32_e32 vcc, s14, v6
	s_and_saveexec_b64 s[0:1], vcc
	s_cbranch_execz .LBB28_9
; %bb.1:
	s_load_dwordx4 s[0:3], s[6:7], 0x0
	s_load_dwordx2 s[12:13], s[6:7], 0x10
	s_waitcnt lgkmcnt(0)
	s_cmp_eq_u64 s[2:3], 0
	s_cbranch_scc1 .LBB28_3
; %bb.2:
	v_ashrrev_i32_e32 v3, 31, v6
	v_mov_b32_e32 v5, s3
	v_add_co_u32_e32 v4, vcc, s2, v6
	v_addc_co_u32_e32 v5, vcc, v5, v3, vcc
	global_load_ubyte v3, v[4:5], off
	s_waitcnt vmcnt(0)
	v_and_b32_e32 v3, 1, v3
	v_cmp_eq_u32_e32 vcc, 1, v3
	s_xor_b64 s[2:3], vcc, -1
	s_orn2_b64 s[2:3], s[2:3], exec
	s_branch .LBB28_4
.LBB28_3:
	s_mov_b64 s[2:3], -1
.LBB28_4:
	v_lshlrev_b32_e32 v4, 2, v6
	v_ashrrev_i32_e32 v5, 31, v4
	v_lshlrev_b64 v[4:5], 2, v[4:5]
	v_mov_b32_e32 v3, s1
	v_add_co_u32_e32 v4, vcc, s0, v4
	v_addc_co_u32_e32 v5, vcc, v3, v5, vcc
	global_load_dwordx4 v[8:11], v[4:5], off
	s_load_dwordx4 s[8:11], s[6:7], 0x30
	s_load_dwordx2 s[0:1], s[4:5], 0x4
	v_bfe_u32 v7, v0, 20, 10
	s_mov_b32 s5, 0x3fb8aa3b
	s_waitcnt lgkmcnt(0)
	s_mov_b32 s11, 0xc2ce8ed0
	s_mov_b32 s15, 0x42b17218
	s_lshr_b32 s0, s0, 16
	s_mul_i32 s0, s0, s1
	v_mul_lo_u32 v0, s0, v1
	v_mad_u32_u24 v12, v2, s1, v0
	v_mov_b32_e32 v4, 0x7f800000
	s_mov_b32 s4, 0
	v_add_lshl_u32 v7, v12, v7, 4
	s_cmp_lt_i32 s8, 1
	s_waitcnt vmcnt(0)
	v_max_f32_e32 v0, v9, v9
	v_max_f32_e32 v1, v8, v8
	;; [unrolled: 1-line block ×3, first 2 shown]
	v_max3_f32 v0, v0, v10, v11
	v_pk_add_f32 v[2:3], v[8:9], v[0:1] op_sel_hi:[1,0] neg_lo:[0,1] neg_hi:[0,1]
	v_mul_f32_e32 v5, 0x3fb8aa3b, v3
	v_pk_add_f32 v[0:1], v[10:11], v[0:1] op_sel_hi:[1,0] neg_lo:[0,1] neg_hi:[0,1]
	v_mul_f32_e32 v8, 0x3fb8aa3b, v2
	v_fma_f32 v11, v3, s5, -v5
	v_rndne_f32_e32 v13, v5
	v_mul_f32_e32 v9, 0x3fb8aa3b, v1
	v_fma_f32 v14, v2, s5, -v8
	v_rndne_f32_e32 v15, v8
	v_fmac_f32_e32 v11, 0x32a5705f, v3
	v_sub_f32_e32 v5, v5, v13
	v_mul_f32_e32 v10, 0x3fb8aa3b, v0
	v_fma_f32 v16, v1, s5, -v9
	v_rndne_f32_e32 v17, v9
	v_fmac_f32_e32 v14, 0x32a5705f, v2
	v_sub_f32_e32 v8, v8, v15
	v_add_f32_e32 v5, v5, v11
	v_fma_f32 v18, v0, s5, -v10
	v_rndne_f32_e32 v19, v10
	v_cvt_i32_f32_e32 v13, v13
	v_fmac_f32_e32 v16, 0x32a5705f, v1
	v_sub_f32_e32 v9, v9, v17
	v_add_f32_e32 v8, v8, v14
	v_exp_f32_e32 v5, v5
	v_cvt_i32_f32_e32 v15, v15
	v_fmac_f32_e32 v18, 0x32a5705f, v0
	v_sub_f32_e32 v10, v10, v19
	v_add_f32_e32 v9, v9, v16
	v_exp_f32_e32 v8, v8
	v_cvt_i32_f32_e32 v17, v17
	v_add_f32_e32 v10, v10, v18
	v_exp_f32_e32 v9, v9
	v_cvt_i32_f32_e32 v19, v19
	v_exp_f32_e32 v10, v10
	v_ldexp_f32 v5, v5, v13
	v_cmp_ngt_f32_e32 vcc, s11, v3
	v_ldexp_f32 v8, v8, v15
	v_cndmask_b32_e32 v5, 0, v5, vcc
	v_cmp_ngt_f32_e32 vcc, s11, v2
	v_ldexp_f32 v9, v9, v17
	v_cndmask_b32_e32 v8, 0, v8, vcc
	;; [unrolled: 3-line block ×3, first 2 shown]
	v_cmp_ngt_f32_e32 vcc, s11, v0
	v_cndmask_b32_e32 v10, 0, v10, vcc
	v_cmp_nlt_f32_e32 vcc, s15, v3
	v_cndmask_b32_e32 v3, v4, v5, vcc
	v_cmp_nlt_f32_e32 vcc, s15, v2
	;; [unrolled: 2-line block ×4, first 2 shown]
	v_cndmask_b32_e32 v4, v4, v10, vcc
	v_add_f32_e32 v0, v2, v3
	v_add_f32_e32 v0, v0, v4
	;; [unrolled: 1-line block ×3, first 2 shown]
	v_div_scale_f32 v1, s[0:1], v0, v0, 1.0
	v_rcp_f32_e32 v8, v1
	v_div_scale_f32 v9, vcc, 1.0, v0, 1.0
	v_fma_f32 v10, -v1, v8, 1.0
	v_fmac_f32_e32 v8, v10, v8
	v_mul_f32_e32 v10, v9, v8
	v_fma_f32 v11, -v1, v10, v9
	v_fmac_f32_e32 v10, v11, v8
	v_fma_f32 v1, -v1, v10, v9
	v_div_fmas_f32 v1, v1, v8, v10
	v_div_fixup_f32 v8, v1, v0, 1.0
	v_pk_mul_f32 v[0:1], v[8:9], v[2:3] op_sel_hi:[0,1]
	v_pk_mul_f32 v[2:3], v[8:9], v[4:5] op_sel_hi:[0,1]
	ds_write_b128 v7, v[0:3]
	s_cbranch_scc1 .LBB28_9
; %bb.5:
	s_load_dwordx4 s[16:19], s[6:7], 0x20
	v_mul_lo_u32 v0, v6, s8
	v_ashrrev_i32_e32 v1, 31, v0
	v_lshlrev_b64 v[4:5], 2, v[0:1]
	v_mov_b32_e32 v1, s13
	v_add_co_u32_e32 v0, vcc, s12, v4
	v_addc_co_u32_e32 v1, vcc, v1, v5, vcc
	s_waitcnt lgkmcnt(0)
	v_mov_b32_e32 v3, s17
	v_add_co_u32_e32 v2, vcc, s16, v4
	v_addc_co_u32_e32 v3, vcc, v3, v5, vcc
	v_mov_b32_e32 v8, s19
	v_add_co_u32_e32 v4, vcc, s18, v4
	v_addc_co_u32_e32 v5, vcc, v8, v5, vcc
	v_mov_b32_e32 v8, 0xc61c4000
	s_branch .LBB28_7
.LBB28_6:                               ;   in Loop: Header=BB28_7 Depth=1
	v_add_co_u32_e32 v0, vcc, 4, v0
	v_addc_co_u32_e32 v1, vcc, 0, v1, vcc
	v_add_co_u32_e32 v2, vcc, 4, v2
	v_addc_co_u32_e32 v3, vcc, 0, v3, vcc
	v_add_co_u32_e32 v4, vcc, 4, v4
	v_add_u32_e32 v6, s14, v6
	s_cmp_lg_u32 s8, s4
	v_addc_co_u32_e32 v5, vcc, 0, v5, vcc
	s_cbranch_scc0 .LBB28_9
.LBB28_7:                               ; =>This Inner Loop Header: Depth=1
	ds_read_b128 v[10:13], v7
	s_add_i32 s4, s4, 1
	s_waitcnt lgkmcnt(0)
	v_cmp_gt_f32_e32 vcc, v11, v10
	v_cndmask_b32_e32 v9, v10, v11, vcc
	v_cndmask_b32_e64 v10, 0, 1, vcc
	v_cmp_gt_f32_e32 vcc, v12, v9
	v_cndmask_b32_e32 v9, v9, v12, vcc
	v_cndmask_b32_e64 v10, v10, 2, vcc
	;; [unrolled: 3-line block ×3, first 2 shown]
	v_cmp_le_i32_e32 vcc, s9, v9
	v_cmp_gt_i32_e64 s[0:1], s10, v9
	s_and_b64 s[0:1], vcc, s[0:1]
	v_subrev_u32_e32 v10, s9, v9
	s_and_b64 vcc, s[2:3], s[0:1]
	v_cndmask_b32_e32 v10, 4, v10, vcc
	s_cmp_ge_i32 s4, s8
	global_store_dword v[0:1], v11, off
	global_store_dword v[2:3], v10, off
	global_store_dword v[4:5], v6, off
	s_cbranch_scc1 .LBB28_6
; %bb.8:                                ;   in Loop: Header=BB28_7 Depth=1
	v_lshl_add_u32 v9, v9, 2, v7
	ds_write_b32 v9, v8
	s_branch .LBB28_6
.LBB28_9:
	s_endpgm
	.section	.rodata,"a",@progbits
	.p2align	6, 0x0
	.amdhsa_kernel _ZN4vllm3moe17topkGatingSoftmaxILi4ELi4ELi4ELi16ELi64EjEEvPKfPKbPfiPT4_Piiii
		.amdhsa_group_segment_fixed_size 4096
		.amdhsa_private_segment_fixed_size 0
		.amdhsa_kernarg_size 60
		.amdhsa_user_sgpr_count 8
		.amdhsa_user_sgpr_private_segment_buffer 1
		.amdhsa_user_sgpr_dispatch_ptr 1
		.amdhsa_user_sgpr_queue_ptr 0
		.amdhsa_user_sgpr_kernarg_segment_ptr 1
		.amdhsa_user_sgpr_dispatch_id 0
		.amdhsa_user_sgpr_flat_scratch_init 0
		.amdhsa_user_sgpr_kernarg_preload_length 0
		.amdhsa_user_sgpr_kernarg_preload_offset 0
		.amdhsa_user_sgpr_private_segment_size 0
		.amdhsa_uses_dynamic_stack 0
		.amdhsa_system_sgpr_private_segment_wavefront_offset 0
		.amdhsa_system_sgpr_workgroup_id_x 1
		.amdhsa_system_sgpr_workgroup_id_y 0
		.amdhsa_system_sgpr_workgroup_id_z 0
		.amdhsa_system_sgpr_workgroup_info 0
		.amdhsa_system_vgpr_workitem_id 2
		.amdhsa_next_free_vgpr 20
		.amdhsa_next_free_sgpr 20
		.amdhsa_accum_offset 20
		.amdhsa_reserve_vcc 1
		.amdhsa_reserve_flat_scratch 0
		.amdhsa_float_round_mode_32 0
		.amdhsa_float_round_mode_16_64 0
		.amdhsa_float_denorm_mode_32 3
		.amdhsa_float_denorm_mode_16_64 3
		.amdhsa_dx10_clamp 1
		.amdhsa_ieee_mode 1
		.amdhsa_fp16_overflow 0
		.amdhsa_tg_split 0
		.amdhsa_exception_fp_ieee_invalid_op 0
		.amdhsa_exception_fp_denorm_src 0
		.amdhsa_exception_fp_ieee_div_zero 0
		.amdhsa_exception_fp_ieee_overflow 0
		.amdhsa_exception_fp_ieee_underflow 0
		.amdhsa_exception_fp_ieee_inexact 0
		.amdhsa_exception_int_div_zero 0
	.end_amdhsa_kernel
	.section	.text._ZN4vllm3moe17topkGatingSoftmaxILi4ELi4ELi4ELi16ELi64EjEEvPKfPKbPfiPT4_Piiii,"axG",@progbits,_ZN4vllm3moe17topkGatingSoftmaxILi4ELi4ELi4ELi16ELi64EjEEvPKfPKbPfiPT4_Piiii,comdat
.Lfunc_end28:
	.size	_ZN4vllm3moe17topkGatingSoftmaxILi4ELi4ELi4ELi16ELi64EjEEvPKfPKbPfiPT4_Piiii, .Lfunc_end28-_ZN4vllm3moe17topkGatingSoftmaxILi4ELi4ELi4ELi16ELi64EjEEvPKfPKbPfiPT4_Piiii
                                        ; -- End function
	.section	.AMDGPU.csdata,"",@progbits
; Kernel info:
; codeLenInByte = 960
; NumSgprs: 24
; NumVgprs: 20
; NumAgprs: 0
; TotalNumVgprs: 20
; ScratchSize: 0
; MemoryBound: 0
; FloatMode: 240
; IeeeMode: 1
; LDSByteSize: 4096 bytes/workgroup (compile time only)
; SGPRBlocks: 2
; VGPRBlocks: 2
; NumSGPRsForWavesPerEU: 24
; NumVGPRsForWavesPerEU: 20
; AccumOffset: 20
; Occupancy: 8
; WaveLimiterHint : 0
; COMPUTE_PGM_RSRC2:SCRATCH_EN: 0
; COMPUTE_PGM_RSRC2:USER_SGPR: 8
; COMPUTE_PGM_RSRC2:TRAP_HANDLER: 0
; COMPUTE_PGM_RSRC2:TGID_X_EN: 1
; COMPUTE_PGM_RSRC2:TGID_Y_EN: 0
; COMPUTE_PGM_RSRC2:TGID_Z_EN: 0
; COMPUTE_PGM_RSRC2:TIDIG_COMP_CNT: 2
; COMPUTE_PGM_RSRC3_GFX90A:ACCUM_OFFSET: 4
; COMPUTE_PGM_RSRC3_GFX90A:TG_SPLIT: 0
	.section	.text._ZN4vllm3moe17topkGatingSoftmaxILi4ELi4ELi4ELi16ELi32EjEEvPKfPKbPfiPT4_Piiii,"axG",@progbits,_ZN4vllm3moe17topkGatingSoftmaxILi4ELi4ELi4ELi16ELi32EjEEvPKfPKbPfiPT4_Piiii,comdat
	.protected	_ZN4vllm3moe17topkGatingSoftmaxILi4ELi4ELi4ELi16ELi32EjEEvPKfPKbPfiPT4_Piiii ; -- Begin function _ZN4vllm3moe17topkGatingSoftmaxILi4ELi4ELi4ELi16ELi32EjEEvPKfPKbPfiPT4_Piiii
	.globl	_ZN4vllm3moe17topkGatingSoftmaxILi4ELi4ELi4ELi16ELi32EjEEvPKfPKbPfiPT4_Piiii
	.p2align	8
	.type	_ZN4vllm3moe17topkGatingSoftmaxILi4ELi4ELi4ELi16ELi32EjEEvPKfPKbPfiPT4_Piiii,@function
_ZN4vllm3moe17topkGatingSoftmaxILi4ELi4ELi4ELi16ELi32EjEEvPKfPKbPfiPT4_Piiii: ; @_ZN4vllm3moe17topkGatingSoftmaxILi4ELi4ELi4ELi16ELi32EjEEvPKfPKbPfiPT4_Piiii
; %bb.0:
	s_load_dword s14, s[6:7], 0x18
	v_bfe_u32 v2, v0, 10, 10
	v_and_b32_e32 v1, 0x3ff, v0
	s_lshl_b32 s0, s8, 7
	v_lshlrev_b32_e32 v3, 5, v2
	v_add3_u32 v6, v3, v1, s0
	s_waitcnt lgkmcnt(0)
	v_cmp_gt_i32_e32 vcc, s14, v6
	s_and_saveexec_b64 s[0:1], vcc
	s_cbranch_execz .LBB29_9
; %bb.1:
	s_load_dwordx4 s[0:3], s[6:7], 0x0
	s_load_dwordx2 s[12:13], s[6:7], 0x10
	s_waitcnt lgkmcnt(0)
	s_cmp_eq_u64 s[2:3], 0
	s_cbranch_scc1 .LBB29_3
; %bb.2:
	v_ashrrev_i32_e32 v3, 31, v6
	v_mov_b32_e32 v5, s3
	v_add_co_u32_e32 v4, vcc, s2, v6
	v_addc_co_u32_e32 v5, vcc, v5, v3, vcc
	global_load_ubyte v3, v[4:5], off
	s_waitcnt vmcnt(0)
	v_and_b32_e32 v3, 1, v3
	v_cmp_eq_u32_e32 vcc, 1, v3
	s_xor_b64 s[2:3], vcc, -1
	s_orn2_b64 s[2:3], s[2:3], exec
	s_branch .LBB29_4
.LBB29_3:
	s_mov_b64 s[2:3], -1
.LBB29_4:
	v_lshlrev_b32_e32 v4, 2, v6
	v_ashrrev_i32_e32 v5, 31, v4
	v_lshlrev_b64 v[4:5], 2, v[4:5]
	v_mov_b32_e32 v3, s1
	v_add_co_u32_e32 v4, vcc, s0, v4
	v_addc_co_u32_e32 v5, vcc, v3, v5, vcc
	global_load_dwordx4 v[8:11], v[4:5], off
	s_load_dwordx4 s[8:11], s[6:7], 0x30
	s_load_dwordx2 s[0:1], s[4:5], 0x4
	v_bfe_u32 v7, v0, 20, 10
	s_mov_b32 s5, 0x3fb8aa3b
	s_waitcnt lgkmcnt(0)
	s_mov_b32 s11, 0xc2ce8ed0
	s_mov_b32 s15, 0x42b17218
	s_lshr_b32 s0, s0, 16
	v_mul_u32_u24_e32 v0, s1, v2
	s_mul_i32 s0, s0, s1
	v_mad_u32_u24 v12, s0, v1, v0
	v_mov_b32_e32 v4, 0x7f800000
	s_mov_b32 s4, 0
	v_add_lshl_u32 v7, v12, v7, 4
	s_cmp_lt_i32 s8, 1
	s_waitcnt vmcnt(0)
	v_max_f32_e32 v0, v9, v9
	v_max_f32_e32 v1, v8, v8
	;; [unrolled: 1-line block ×3, first 2 shown]
	v_max3_f32 v0, v0, v10, v11
	v_pk_add_f32 v[2:3], v[8:9], v[0:1] op_sel_hi:[1,0] neg_lo:[0,1] neg_hi:[0,1]
	v_mul_f32_e32 v5, 0x3fb8aa3b, v3
	v_pk_add_f32 v[0:1], v[10:11], v[0:1] op_sel_hi:[1,0] neg_lo:[0,1] neg_hi:[0,1]
	v_mul_f32_e32 v8, 0x3fb8aa3b, v2
	v_fma_f32 v11, v3, s5, -v5
	v_rndne_f32_e32 v13, v5
	v_mul_f32_e32 v9, 0x3fb8aa3b, v1
	v_fma_f32 v14, v2, s5, -v8
	v_rndne_f32_e32 v15, v8
	v_fmac_f32_e32 v11, 0x32a5705f, v3
	v_sub_f32_e32 v5, v5, v13
	v_mul_f32_e32 v10, 0x3fb8aa3b, v0
	v_fma_f32 v16, v1, s5, -v9
	v_rndne_f32_e32 v17, v9
	v_fmac_f32_e32 v14, 0x32a5705f, v2
	v_sub_f32_e32 v8, v8, v15
	v_add_f32_e32 v5, v5, v11
	v_fma_f32 v18, v0, s5, -v10
	v_rndne_f32_e32 v19, v10
	v_cvt_i32_f32_e32 v13, v13
	v_fmac_f32_e32 v16, 0x32a5705f, v1
	v_sub_f32_e32 v9, v9, v17
	v_add_f32_e32 v8, v8, v14
	v_exp_f32_e32 v5, v5
	v_cvt_i32_f32_e32 v15, v15
	v_fmac_f32_e32 v18, 0x32a5705f, v0
	v_sub_f32_e32 v10, v10, v19
	v_add_f32_e32 v9, v9, v16
	v_exp_f32_e32 v8, v8
	v_cvt_i32_f32_e32 v17, v17
	v_add_f32_e32 v10, v10, v18
	v_exp_f32_e32 v9, v9
	v_cvt_i32_f32_e32 v19, v19
	v_exp_f32_e32 v10, v10
	v_ldexp_f32 v5, v5, v13
	v_cmp_ngt_f32_e32 vcc, s11, v3
	v_ldexp_f32 v8, v8, v15
	v_cndmask_b32_e32 v5, 0, v5, vcc
	v_cmp_ngt_f32_e32 vcc, s11, v2
	v_ldexp_f32 v9, v9, v17
	v_cndmask_b32_e32 v8, 0, v8, vcc
	;; [unrolled: 3-line block ×3, first 2 shown]
	v_cmp_ngt_f32_e32 vcc, s11, v0
	v_cndmask_b32_e32 v10, 0, v10, vcc
	v_cmp_nlt_f32_e32 vcc, s15, v3
	v_cndmask_b32_e32 v3, v4, v5, vcc
	v_cmp_nlt_f32_e32 vcc, s15, v2
	;; [unrolled: 2-line block ×4, first 2 shown]
	v_cndmask_b32_e32 v4, v4, v10, vcc
	v_add_f32_e32 v0, v2, v3
	v_add_f32_e32 v0, v0, v4
	;; [unrolled: 1-line block ×3, first 2 shown]
	v_div_scale_f32 v1, s[0:1], v0, v0, 1.0
	v_rcp_f32_e32 v8, v1
	v_div_scale_f32 v9, vcc, 1.0, v0, 1.0
	v_fma_f32 v10, -v1, v8, 1.0
	v_fmac_f32_e32 v8, v10, v8
	v_mul_f32_e32 v10, v9, v8
	v_fma_f32 v11, -v1, v10, v9
	v_fmac_f32_e32 v10, v11, v8
	v_fma_f32 v1, -v1, v10, v9
	v_div_fmas_f32 v1, v1, v8, v10
	v_div_fixup_f32 v8, v1, v0, 1.0
	v_pk_mul_f32 v[0:1], v[8:9], v[2:3] op_sel_hi:[0,1]
	v_pk_mul_f32 v[2:3], v[8:9], v[4:5] op_sel_hi:[0,1]
	ds_write_b128 v7, v[0:3]
	s_cbranch_scc1 .LBB29_9
; %bb.5:
	s_load_dwordx4 s[16:19], s[6:7], 0x20
	v_mul_lo_u32 v0, v6, s8
	v_ashrrev_i32_e32 v1, 31, v0
	v_lshlrev_b64 v[4:5], 2, v[0:1]
	v_mov_b32_e32 v1, s13
	v_add_co_u32_e32 v0, vcc, s12, v4
	v_addc_co_u32_e32 v1, vcc, v1, v5, vcc
	s_waitcnt lgkmcnt(0)
	v_mov_b32_e32 v3, s17
	v_add_co_u32_e32 v2, vcc, s16, v4
	v_addc_co_u32_e32 v3, vcc, v3, v5, vcc
	v_mov_b32_e32 v8, s19
	v_add_co_u32_e32 v4, vcc, s18, v4
	v_addc_co_u32_e32 v5, vcc, v8, v5, vcc
	v_mov_b32_e32 v8, 0xc61c4000
	s_branch .LBB29_7
.LBB29_6:                               ;   in Loop: Header=BB29_7 Depth=1
	v_add_co_u32_e32 v0, vcc, 4, v0
	v_addc_co_u32_e32 v1, vcc, 0, v1, vcc
	v_add_co_u32_e32 v2, vcc, 4, v2
	v_addc_co_u32_e32 v3, vcc, 0, v3, vcc
	v_add_co_u32_e32 v4, vcc, 4, v4
	v_add_u32_e32 v6, s14, v6
	s_cmp_lg_u32 s8, s4
	v_addc_co_u32_e32 v5, vcc, 0, v5, vcc
	s_cbranch_scc0 .LBB29_9
.LBB29_7:                               ; =>This Inner Loop Header: Depth=1
	ds_read_b128 v[10:13], v7
	s_add_i32 s4, s4, 1
	s_waitcnt lgkmcnt(0)
	v_cmp_gt_f32_e32 vcc, v11, v10
	v_cndmask_b32_e32 v9, v10, v11, vcc
	v_cndmask_b32_e64 v10, 0, 1, vcc
	v_cmp_gt_f32_e32 vcc, v12, v9
	v_cndmask_b32_e32 v9, v9, v12, vcc
	v_cndmask_b32_e64 v10, v10, 2, vcc
	;; [unrolled: 3-line block ×3, first 2 shown]
	v_cmp_le_i32_e32 vcc, s9, v9
	v_cmp_gt_i32_e64 s[0:1], s10, v9
	s_and_b64 s[0:1], vcc, s[0:1]
	v_subrev_u32_e32 v10, s9, v9
	s_and_b64 vcc, s[2:3], s[0:1]
	v_cndmask_b32_e32 v10, 4, v10, vcc
	s_cmp_ge_i32 s4, s8
	global_store_dword v[0:1], v11, off
	global_store_dword v[2:3], v10, off
	;; [unrolled: 1-line block ×3, first 2 shown]
	s_cbranch_scc1 .LBB29_6
; %bb.8:                                ;   in Loop: Header=BB29_7 Depth=1
	v_lshl_add_u32 v9, v9, 2, v7
	ds_write_b32 v9, v8
	s_branch .LBB29_6
.LBB29_9:
	s_endpgm
	.section	.rodata,"a",@progbits
	.p2align	6, 0x0
	.amdhsa_kernel _ZN4vllm3moe17topkGatingSoftmaxILi4ELi4ELi4ELi16ELi32EjEEvPKfPKbPfiPT4_Piiii
		.amdhsa_group_segment_fixed_size 2048
		.amdhsa_private_segment_fixed_size 0
		.amdhsa_kernarg_size 60
		.amdhsa_user_sgpr_count 8
		.amdhsa_user_sgpr_private_segment_buffer 1
		.amdhsa_user_sgpr_dispatch_ptr 1
		.amdhsa_user_sgpr_queue_ptr 0
		.amdhsa_user_sgpr_kernarg_segment_ptr 1
		.amdhsa_user_sgpr_dispatch_id 0
		.amdhsa_user_sgpr_flat_scratch_init 0
		.amdhsa_user_sgpr_kernarg_preload_length 0
		.amdhsa_user_sgpr_kernarg_preload_offset 0
		.amdhsa_user_sgpr_private_segment_size 0
		.amdhsa_uses_dynamic_stack 0
		.amdhsa_system_sgpr_private_segment_wavefront_offset 0
		.amdhsa_system_sgpr_workgroup_id_x 1
		.amdhsa_system_sgpr_workgroup_id_y 0
		.amdhsa_system_sgpr_workgroup_id_z 0
		.amdhsa_system_sgpr_workgroup_info 0
		.amdhsa_system_vgpr_workitem_id 2
		.amdhsa_next_free_vgpr 20
		.amdhsa_next_free_sgpr 20
		.amdhsa_accum_offset 20
		.amdhsa_reserve_vcc 1
		.amdhsa_reserve_flat_scratch 0
		.amdhsa_float_round_mode_32 0
		.amdhsa_float_round_mode_16_64 0
		.amdhsa_float_denorm_mode_32 3
		.amdhsa_float_denorm_mode_16_64 3
		.amdhsa_dx10_clamp 1
		.amdhsa_ieee_mode 1
		.amdhsa_fp16_overflow 0
		.amdhsa_tg_split 0
		.amdhsa_exception_fp_ieee_invalid_op 0
		.amdhsa_exception_fp_denorm_src 0
		.amdhsa_exception_fp_ieee_div_zero 0
		.amdhsa_exception_fp_ieee_overflow 0
		.amdhsa_exception_fp_ieee_underflow 0
		.amdhsa_exception_fp_ieee_inexact 0
		.amdhsa_exception_int_div_zero 0
	.end_amdhsa_kernel
	.section	.text._ZN4vllm3moe17topkGatingSoftmaxILi4ELi4ELi4ELi16ELi32EjEEvPKfPKbPfiPT4_Piiii,"axG",@progbits,_ZN4vllm3moe17topkGatingSoftmaxILi4ELi4ELi4ELi16ELi32EjEEvPKfPKbPfiPT4_Piiii,comdat
.Lfunc_end29:
	.size	_ZN4vllm3moe17topkGatingSoftmaxILi4ELi4ELi4ELi16ELi32EjEEvPKfPKbPfiPT4_Piiii, .Lfunc_end29-_ZN4vllm3moe17topkGatingSoftmaxILi4ELi4ELi4ELi16ELi32EjEEvPKfPKbPfiPT4_Piiii
                                        ; -- End function
	.section	.AMDGPU.csdata,"",@progbits
; Kernel info:
; codeLenInByte = 956
; NumSgprs: 24
; NumVgprs: 20
; NumAgprs: 0
; TotalNumVgprs: 20
; ScratchSize: 0
; MemoryBound: 0
; FloatMode: 240
; IeeeMode: 1
; LDSByteSize: 2048 bytes/workgroup (compile time only)
; SGPRBlocks: 2
; VGPRBlocks: 2
; NumSGPRsForWavesPerEU: 24
; NumVGPRsForWavesPerEU: 20
; AccumOffset: 20
; Occupancy: 8
; WaveLimiterHint : 0
; COMPUTE_PGM_RSRC2:SCRATCH_EN: 0
; COMPUTE_PGM_RSRC2:USER_SGPR: 8
; COMPUTE_PGM_RSRC2:TRAP_HANDLER: 0
; COMPUTE_PGM_RSRC2:TGID_X_EN: 1
; COMPUTE_PGM_RSRC2:TGID_Y_EN: 0
; COMPUTE_PGM_RSRC2:TGID_Z_EN: 0
; COMPUTE_PGM_RSRC2:TIDIG_COMP_CNT: 2
; COMPUTE_PGM_RSRC3_GFX90A:ACCUM_OFFSET: 4
; COMPUTE_PGM_RSRC3_GFX90A:TG_SPLIT: 0
	.section	.text._ZN4vllm3moe17topkGatingSoftmaxILi4ELi8ELi4ELi16ELi64EjEEvPKfPKbPfiPT4_Piiii,"axG",@progbits,_ZN4vllm3moe17topkGatingSoftmaxILi4ELi8ELi4ELi16ELi64EjEEvPKfPKbPfiPT4_Piiii,comdat
	.protected	_ZN4vllm3moe17topkGatingSoftmaxILi4ELi8ELi4ELi16ELi64EjEEvPKfPKbPfiPT4_Piiii ; -- Begin function _ZN4vllm3moe17topkGatingSoftmaxILi4ELi8ELi4ELi16ELi64EjEEvPKfPKbPfiPT4_Piiii
	.globl	_ZN4vllm3moe17topkGatingSoftmaxILi4ELi8ELi4ELi16ELi64EjEEvPKfPKbPfiPT4_Piiii
	.p2align	8
	.type	_ZN4vllm3moe17topkGatingSoftmaxILi4ELi8ELi4ELi16ELi64EjEEvPKfPKbPfiPT4_Piiii,@function
_ZN4vllm3moe17topkGatingSoftmaxILi4ELi8ELi4ELi16ELi64EjEEvPKfPKbPfiPT4_Piiii: ; @_ZN4vllm3moe17topkGatingSoftmaxILi4ELi8ELi4ELi16ELi64EjEEvPKfPKbPfiPT4_Piiii
; %bb.0:
	s_load_dword s20, s[6:7], 0x18
	v_and_b32_e32 v3, 0x3ff, v0
	v_bfe_u32 v4, v0, 10, 10
	s_lshl_b32 s0, s8, 7
	v_lshlrev_b32_e32 v1, 5, v4
	v_lshrrev_b32_e32 v2, 1, v3
	v_add3_u32 v1, s0, v1, v2
	s_waitcnt lgkmcnt(0)
	v_cmp_gt_i32_e32 vcc, s20, v1
	s_and_saveexec_b64 s[0:1], vcc
	s_cbranch_execz .LBB30_15
; %bb.1:
	s_load_dwordx4 s[0:3], s[6:7], 0x0
	s_load_dwordx2 s[12:13], s[6:7], 0x10
	s_waitcnt lgkmcnt(0)
	s_cmp_eq_u64 s[2:3], 0
	s_cbranch_scc1 .LBB30_3
; %bb.2:
	v_ashrrev_i32_e32 v2, 31, v1
	v_mov_b32_e32 v5, s3
	v_add_co_u32_e32 v6, vcc, s2, v1
	v_addc_co_u32_e32 v7, vcc, v5, v2, vcc
	global_load_ubyte v2, v[6:7], off
	s_waitcnt vmcnt(0)
	v_and_b32_e32 v2, 1, v2
	v_cmp_eq_u32_e32 vcc, 1, v2
	s_xor_b64 s[2:3], vcc, -1
	s_orn2_b64 s[14:15], s[2:3], exec
	s_branch .LBB30_4
.LBB30_3:
	s_mov_b64 s[14:15], -1
.LBB30_4:
	v_lshlrev_b32_e32 v6, 3, v1
	v_ashrrev_i32_e32 v7, 31, v6
	v_lshlrev_b64 v[6:7], 2, v[6:7]
	v_mov_b32_e32 v2, s1
	v_add_co_u32_e32 v5, vcc, s0, v6
	v_addc_co_u32_e32 v7, vcc, v2, v7, vcc
	v_and_b32_e32 v2, 1, v3
	v_lshlrev_b32_e32 v6, 4, v2
	v_add_co_u32_e32 v6, vcc, v5, v6
	v_addc_co_u32_e32 v7, vcc, 0, v7, vcc
	global_load_dwordx4 v[6:9], v[6:7], off
	v_bfe_u32 v5, v0, 20, 10
	v_mbcnt_lo_u32_b32 v0, -1, 0
	v_mbcnt_hi_u32_b32 v0, -1, v0
	v_and_b32_e32 v11, 0x7e, v0
	v_xor_b32_e32 v10, 1, v0
	v_add_u32_e32 v11, 2, v11
	v_cmp_lt_i32_e32 vcc, v10, v11
	v_cndmask_b32_e32 v0, v0, v10, vcc
	v_lshlrev_b32_e32 v0, 2, v0
	s_mov_b32 s2, 0x3fb8aa3b
	s_mov_b32 s3, 0xc2ce8ed0
	s_load_dwordx4 s[8:11], s[6:7], 0x30
	s_load_dwordx2 s[0:1], s[4:5], 0x4
	s_mov_b32 s4, 0x42b17218
	v_mov_b32_e32 v12, 0x7f800000
	s_waitcnt lgkmcnt(0)
	s_mov_b32 s11, 0
	s_lshr_b32 s0, s0, 16
	s_mul_i32 s0, s0, s1
	v_mul_lo_u32 v3, s0, v3
	v_mad_u32_u24 v3, v4, s1, v3
	v_add_lshl_u32 v3, v3, v5, 4
	s_cmp_lt_i32 s8, 1
	s_waitcnt vmcnt(0)
	v_max_f32_e32 v10, v7, v7
	v_max_f32_e32 v11, v6, v6
	;; [unrolled: 1-line block ×3, first 2 shown]
	v_max3_f32 v10, v10, v8, v9
	ds_bpermute_b32 v11, v0, v10
	s_waitcnt lgkmcnt(0)
	v_max_f32_e32 v11, v11, v11
	v_max_f32_e32 v10, v10, v11
	v_pk_add_f32 v[8:9], v[8:9], v[10:11] op_sel_hi:[1,0] neg_lo:[0,1] neg_hi:[0,1]
	v_pk_add_f32 v[6:7], v[6:7], v[10:11] op_sel_hi:[1,0] neg_lo:[0,1] neg_hi:[0,1]
	v_mul_f32_e32 v10, 0x3fb8aa3b, v9
	v_mul_f32_e32 v11, 0x3fb8aa3b, v8
	v_fma_f32 v15, v9, s2, -v10
	v_rndne_f32_e32 v16, v10
	v_mul_f32_e32 v13, 0x3fb8aa3b, v7
	v_fma_f32 v17, v8, s2, -v11
	v_rndne_f32_e32 v18, v11
	v_fmac_f32_e32 v15, 0x32a5705f, v9
	v_sub_f32_e32 v10, v10, v16
	v_mul_f32_e32 v14, 0x3fb8aa3b, v6
	v_fma_f32 v19, v7, s2, -v13
	v_rndne_f32_e32 v20, v13
	v_fmac_f32_e32 v17, 0x32a5705f, v8
	v_sub_f32_e32 v11, v11, v18
	v_add_f32_e32 v10, v10, v15
	v_fma_f32 v21, v6, s2, -v14
	v_rndne_f32_e32 v22, v14
	v_cvt_i32_f32_e32 v16, v16
	v_fmac_f32_e32 v19, 0x32a5705f, v7
	v_sub_f32_e32 v13, v13, v20
	v_add_f32_e32 v11, v11, v17
	v_exp_f32_e32 v10, v10
	v_cvt_i32_f32_e32 v18, v18
	v_fmac_f32_e32 v21, 0x32a5705f, v6
	v_sub_f32_e32 v14, v14, v22
	v_add_f32_e32 v13, v13, v19
	v_exp_f32_e32 v11, v11
	v_cvt_i32_f32_e32 v20, v20
	v_add_f32_e32 v14, v14, v21
	v_exp_f32_e32 v13, v13
	v_cvt_i32_f32_e32 v22, v22
	v_exp_f32_e32 v14, v14
	v_ldexp_f32 v10, v10, v16
	v_cmp_ngt_f32_e32 vcc, s3, v9
	v_ldexp_f32 v11, v11, v18
	v_cndmask_b32_e32 v10, 0, v10, vcc
	v_cmp_ngt_f32_e32 vcc, s3, v8
	v_ldexp_f32 v13, v13, v20
	v_cndmask_b32_e32 v11, 0, v11, vcc
	;; [unrolled: 3-line block ×3, first 2 shown]
	v_cmp_ngt_f32_e32 vcc, s3, v6
	v_cndmask_b32_e32 v14, 0, v14, vcc
	v_cmp_nlt_f32_e32 vcc, s4, v9
	v_cndmask_b32_e32 v9, v12, v10, vcc
	v_cmp_nlt_f32_e32 vcc, s4, v8
	;; [unrolled: 2-line block ×4, first 2 shown]
	v_cndmask_b32_e32 v6, v12, v14, vcc
	v_add_f32_e32 v10, v6, v7
	v_add_f32_e32 v10, v10, v8
	;; [unrolled: 1-line block ×3, first 2 shown]
	ds_bpermute_b32 v11, v0, v10
	s_waitcnt lgkmcnt(0)
	v_add_f32_e32 v4, v10, v11
	v_div_scale_f32 v10, s[0:1], v4, v4, 1.0
	v_rcp_f32_e32 v11, v10
	v_div_scale_f32 v5, vcc, 1.0, v4, 1.0
	v_fma_f32 v12, -v10, v11, 1.0
	v_fmac_f32_e32 v11, v12, v11
	v_mul_f32_e32 v12, v5, v11
	v_fma_f32 v13, -v10, v12, v5
	v_fmac_f32_e32 v12, v13, v11
	v_fma_f32 v5, -v10, v12, v5
	v_div_fmas_f32 v5, v5, v11, v12
	v_div_fixup_f32 v10, v5, v4, 1.0
	v_pk_mul_f32 v[4:5], v[10:11], v[6:7] op_sel_hi:[0,1]
	v_pk_mul_f32 v[6:7], v[10:11], v[8:9] op_sel_hi:[0,1]
	ds_write_b128 v3, v[4:7]
	s_cbranch_scc1 .LBB30_15
; %bb.5:
	s_load_dwordx4 s[4:7], s[6:7], 0x20
	v_lshlrev_b32_e32 v4, 2, v2
	v_cmp_eq_u32_e32 vcc, 0, v2
	v_mul_lo_u32 v5, v1, s8
	v_mov_b32_e32 v6, 0xc61c4000
	s_branch .LBB30_7
.LBB30_6:                               ;   in Loop: Header=BB30_7 Depth=1
	s_or_b64 exec, exec, s[0:1]
	s_cmp_lg_u32 s8, s11
	v_add_u32_e32 v1, s20, v1
	s_cbranch_scc0 .LBB30_15
.LBB30_7:                               ; =>This Inner Loop Header: Depth=1
	ds_read_b128 v[8:11], v3
	s_waitcnt lgkmcnt(0)
	v_cmp_gt_f32_e64 s[0:1], v9, v8
	v_cndmask_b32_e64 v7, v8, v9, s[0:1]
	v_cndmask_b32_e64 v8, 0, 1, s[0:1]
	v_cmp_gt_f32_e64 s[0:1], v10, v7
	v_cndmask_b32_e64 v7, v7, v10, s[0:1]
	v_cndmask_b32_e64 v9, v8, 2, s[0:1]
	;; [unrolled: 3-line block ×3, first 2 shown]
	ds_bpermute_b32 v9, v0, v8
	v_or_b32_e32 v7, v4, v7
	ds_bpermute_b32 v10, v0, v7
	s_waitcnt lgkmcnt(1)
	v_cmp_lt_f32_e64 s[16:17], v8, v9
	v_cmp_nlt_f32_e64 s[0:1], v8, v9
	s_and_saveexec_b64 s[18:19], s[0:1]
	s_cbranch_execnz .LBB30_13
; %bb.8:                                ;   in Loop: Header=BB30_7 Depth=1
	s_or_b64 exec, exec, s[18:19]
	s_and_saveexec_b64 s[0:1], s[16:17]
	s_cbranch_execnz .LBB30_14
.LBB30_9:                               ;   in Loop: Header=BB30_7 Depth=1
	s_or_b64 exec, exec, s[0:1]
	s_and_saveexec_b64 s[16:17], vcc
	s_cbranch_execz .LBB30_11
.LBB30_10:                              ;   in Loop: Header=BB30_7 Depth=1
	s_waitcnt lgkmcnt(0)
	v_add_u32_e32 v10, s11, v5
	v_ashrrev_i32_e32 v11, 31, v10
	v_cmp_le_i32_e64 s[0:1], s9, v7
	v_cmp_gt_i32_e64 s[2:3], s10, v7
	v_lshlrev_b64 v[10:11], 2, v[10:11]
	s_and_b64 s[2:3], s[0:1], s[2:3]
	v_mov_b32_e32 v9, s13
	v_add_co_u32_e64 v12, s[0:1], s12, v10
	v_addc_co_u32_e64 v13, s[0:1], v9, v11, s[0:1]
	global_store_dword v[12:13], v8, off
	v_subrev_u32_e32 v8, s9, v7
	s_and_b64 s[0:1], s[14:15], s[2:3]
	v_cndmask_b32_e64 v12, 8, v8, s[0:1]
	v_mov_b32_e32 v9, s5
	v_add_co_u32_e64 v8, s[0:1], s4, v10
	v_addc_co_u32_e64 v9, s[0:1], v9, v11, s[0:1]
	global_store_dword v[8:9], v12, off
	v_mov_b32_e32 v9, s7
	v_add_co_u32_e64 v8, s[0:1], s6, v10
	v_addc_co_u32_e64 v9, s[0:1], v9, v11, s[0:1]
	global_store_dword v[8:9], v1, off
.LBB30_11:                              ;   in Loop: Header=BB30_7 Depth=1
	s_or_b64 exec, exec, s[16:17]
	v_ashrrev_i32_e32 v8, 31, v7
	v_lshrrev_b32_e32 v9, 30, v8
	s_waitcnt lgkmcnt(0)
	v_add_u32_e32 v10, v7, v9
	v_ashrrev_i32_e32 v9, 2, v10
	v_lshrrev_b32_e32 v10, 31, v10
	v_add_u32_e32 v10, v9, v10
	s_add_i32 s11, s11, 1
	v_and_b32_e32 v10, -2, v10
	s_cmp_lt_i32 s11, s8
	v_sub_u32_e32 v10, v9, v10
	s_cselect_b64 s[2:3], -1, 0
	v_cmp_eq_u32_e64 s[0:1], v2, v10
	s_and_b64 s[2:3], s[2:3], s[0:1]
	s_and_saveexec_b64 s[0:1], s[2:3]
	s_cbranch_execz .LBB30_6
; %bb.12:                               ;   in Loop: Header=BB30_7 Depth=1
	v_lshrrev_b32_e32 v8, 29, v8
	v_add_u32_e32 v8, v7, v8
	v_lshlrev_b32_e32 v9, 2, v9
	v_lshrrev_b32_e32 v8, 1, v8
	v_sub_u32_e32 v7, v7, v9
	v_and_b32_e32 v8, 0x7ffffffc, v8
	v_add_u32_e32 v7, v8, v7
	v_lshl_add_u32 v7, v7, 2, v3
	ds_write_b32 v7, v6
	s_branch .LBB30_6
.LBB30_13:                              ;   in Loop: Header=BB30_7 Depth=1
	v_cmp_eq_f32_e64 s[0:1], v8, v9
	s_waitcnt lgkmcnt(0)
	v_cmp_lt_i32_e64 s[2:3], v10, v7
	s_and_b64 s[0:1], s[0:1], s[2:3]
	s_andn2_b64 s[2:3], s[16:17], exec
	s_and_b64 s[0:1], s[0:1], exec
	s_or_b64 s[16:17], s[2:3], s[0:1]
	s_or_b64 exec, exec, s[18:19]
	s_and_saveexec_b64 s[0:1], s[16:17]
	s_cbranch_execz .LBB30_9
.LBB30_14:                              ;   in Loop: Header=BB30_7 Depth=1
	v_mov_b32_e32 v8, v9
	s_waitcnt lgkmcnt(0)
	v_mov_b32_e32 v7, v10
	s_or_b64 exec, exec, s[0:1]
	s_and_saveexec_b64 s[16:17], vcc
	s_cbranch_execnz .LBB30_10
	s_branch .LBB30_11
.LBB30_15:
	s_endpgm
	.section	.rodata,"a",@progbits
	.p2align	6, 0x0
	.amdhsa_kernel _ZN4vllm3moe17topkGatingSoftmaxILi4ELi8ELi4ELi16ELi64EjEEvPKfPKbPfiPT4_Piiii
		.amdhsa_group_segment_fixed_size 4096
		.amdhsa_private_segment_fixed_size 0
		.amdhsa_kernarg_size 60
		.amdhsa_user_sgpr_count 8
		.amdhsa_user_sgpr_private_segment_buffer 1
		.amdhsa_user_sgpr_dispatch_ptr 1
		.amdhsa_user_sgpr_queue_ptr 0
		.amdhsa_user_sgpr_kernarg_segment_ptr 1
		.amdhsa_user_sgpr_dispatch_id 0
		.amdhsa_user_sgpr_flat_scratch_init 0
		.amdhsa_user_sgpr_kernarg_preload_length 0
		.amdhsa_user_sgpr_kernarg_preload_offset 0
		.amdhsa_user_sgpr_private_segment_size 0
		.amdhsa_uses_dynamic_stack 0
		.amdhsa_system_sgpr_private_segment_wavefront_offset 0
		.amdhsa_system_sgpr_workgroup_id_x 1
		.amdhsa_system_sgpr_workgroup_id_y 0
		.amdhsa_system_sgpr_workgroup_id_z 0
		.amdhsa_system_sgpr_workgroup_info 0
		.amdhsa_system_vgpr_workitem_id 2
		.amdhsa_next_free_vgpr 23
		.amdhsa_next_free_sgpr 21
		.amdhsa_accum_offset 24
		.amdhsa_reserve_vcc 1
		.amdhsa_reserve_flat_scratch 0
		.amdhsa_float_round_mode_32 0
		.amdhsa_float_round_mode_16_64 0
		.amdhsa_float_denorm_mode_32 3
		.amdhsa_float_denorm_mode_16_64 3
		.amdhsa_dx10_clamp 1
		.amdhsa_ieee_mode 1
		.amdhsa_fp16_overflow 0
		.amdhsa_tg_split 0
		.amdhsa_exception_fp_ieee_invalid_op 0
		.amdhsa_exception_fp_denorm_src 0
		.amdhsa_exception_fp_ieee_div_zero 0
		.amdhsa_exception_fp_ieee_overflow 0
		.amdhsa_exception_fp_ieee_underflow 0
		.amdhsa_exception_fp_ieee_inexact 0
		.amdhsa_exception_int_div_zero 0
	.end_amdhsa_kernel
	.section	.text._ZN4vllm3moe17topkGatingSoftmaxILi4ELi8ELi4ELi16ELi64EjEEvPKfPKbPfiPT4_Piiii,"axG",@progbits,_ZN4vllm3moe17topkGatingSoftmaxILi4ELi8ELi4ELi16ELi64EjEEvPKfPKbPfiPT4_Piiii,comdat
.Lfunc_end30:
	.size	_ZN4vllm3moe17topkGatingSoftmaxILi4ELi8ELi4ELi16ELi64EjEEvPKfPKbPfiPT4_Piiii, .Lfunc_end30-_ZN4vllm3moe17topkGatingSoftmaxILi4ELi8ELi4ELi16ELi64EjEEvPKfPKbPfiPT4_Piiii
                                        ; -- End function
	.section	.AMDGPU.csdata,"",@progbits
; Kernel info:
; codeLenInByte = 1348
; NumSgprs: 25
; NumVgprs: 23
; NumAgprs: 0
; TotalNumVgprs: 23
; ScratchSize: 0
; MemoryBound: 0
; FloatMode: 240
; IeeeMode: 1
; LDSByteSize: 4096 bytes/workgroup (compile time only)
; SGPRBlocks: 3
; VGPRBlocks: 2
; NumSGPRsForWavesPerEU: 25
; NumVGPRsForWavesPerEU: 23
; AccumOffset: 24
; Occupancy: 8
; WaveLimiterHint : 0
; COMPUTE_PGM_RSRC2:SCRATCH_EN: 0
; COMPUTE_PGM_RSRC2:USER_SGPR: 8
; COMPUTE_PGM_RSRC2:TRAP_HANDLER: 0
; COMPUTE_PGM_RSRC2:TGID_X_EN: 1
; COMPUTE_PGM_RSRC2:TGID_Y_EN: 0
; COMPUTE_PGM_RSRC2:TGID_Z_EN: 0
; COMPUTE_PGM_RSRC2:TIDIG_COMP_CNT: 2
; COMPUTE_PGM_RSRC3_GFX90A:ACCUM_OFFSET: 5
; COMPUTE_PGM_RSRC3_GFX90A:TG_SPLIT: 0
	.section	.text._ZN4vllm3moe17topkGatingSoftmaxILi4ELi8ELi4ELi16ELi32EjEEvPKfPKbPfiPT4_Piiii,"axG",@progbits,_ZN4vllm3moe17topkGatingSoftmaxILi4ELi8ELi4ELi16ELi32EjEEvPKfPKbPfiPT4_Piiii,comdat
	.protected	_ZN4vllm3moe17topkGatingSoftmaxILi4ELi8ELi4ELi16ELi32EjEEvPKfPKbPfiPT4_Piiii ; -- Begin function _ZN4vllm3moe17topkGatingSoftmaxILi4ELi8ELi4ELi16ELi32EjEEvPKfPKbPfiPT4_Piiii
	.globl	_ZN4vllm3moe17topkGatingSoftmaxILi4ELi8ELi4ELi16ELi32EjEEvPKfPKbPfiPT4_Piiii
	.p2align	8
	.type	_ZN4vllm3moe17topkGatingSoftmaxILi4ELi8ELi4ELi16ELi32EjEEvPKfPKbPfiPT4_Piiii,@function
_ZN4vllm3moe17topkGatingSoftmaxILi4ELi8ELi4ELi16ELi32EjEEvPKfPKbPfiPT4_Piiii: ; @_ZN4vllm3moe17topkGatingSoftmaxILi4ELi8ELi4ELi16ELi32EjEEvPKfPKbPfiPT4_Piiii
; %bb.0:
	s_load_dword s20, s[6:7], 0x18
	v_and_b32_e32 v3, 0x3ff, v0
	v_bfe_u32 v4, v0, 10, 10
	s_lshl_b32 s0, s8, 6
	v_lshlrev_b32_e32 v1, 4, v4
	v_lshrrev_b32_e32 v2, 1, v3
	v_add3_u32 v1, s0, v1, v2
	s_waitcnt lgkmcnt(0)
	v_cmp_gt_i32_e32 vcc, s20, v1
	s_and_saveexec_b64 s[0:1], vcc
	s_cbranch_execz .LBB31_15
; %bb.1:
	s_load_dwordx4 s[0:3], s[6:7], 0x0
	s_load_dwordx2 s[12:13], s[6:7], 0x10
	s_waitcnt lgkmcnt(0)
	s_cmp_eq_u64 s[2:3], 0
	s_cbranch_scc1 .LBB31_3
; %bb.2:
	v_ashrrev_i32_e32 v2, 31, v1
	v_mov_b32_e32 v5, s3
	v_add_co_u32_e32 v6, vcc, s2, v1
	v_addc_co_u32_e32 v7, vcc, v5, v2, vcc
	global_load_ubyte v2, v[6:7], off
	s_waitcnt vmcnt(0)
	v_and_b32_e32 v2, 1, v2
	v_cmp_eq_u32_e32 vcc, 1, v2
	s_xor_b64 s[2:3], vcc, -1
	s_orn2_b64 s[14:15], s[2:3], exec
	s_branch .LBB31_4
.LBB31_3:
	s_mov_b64 s[14:15], -1
.LBB31_4:
	v_lshlrev_b32_e32 v6, 3, v1
	v_ashrrev_i32_e32 v7, 31, v6
	v_lshlrev_b64 v[6:7], 2, v[6:7]
	v_mov_b32_e32 v2, s1
	v_add_co_u32_e32 v5, vcc, s0, v6
	v_addc_co_u32_e32 v7, vcc, v2, v7, vcc
	v_and_b32_e32 v2, 1, v3
	v_lshlrev_b32_e32 v6, 4, v2
	v_add_co_u32_e32 v6, vcc, v5, v6
	v_addc_co_u32_e32 v7, vcc, 0, v7, vcc
	global_load_dwordx4 v[6:9], v[6:7], off
	v_bfe_u32 v5, v0, 20, 10
	v_mbcnt_lo_u32_b32 v0, -1, 0
	v_mbcnt_hi_u32_b32 v0, -1, v0
	v_and_b32_e32 v11, 0x7e, v0
	v_xor_b32_e32 v10, 1, v0
	v_add_u32_e32 v11, 2, v11
	v_cmp_lt_i32_e32 vcc, v10, v11
	v_cndmask_b32_e32 v0, v0, v10, vcc
	v_lshlrev_b32_e32 v0, 2, v0
	s_mov_b32 s2, 0x3fb8aa3b
	s_mov_b32 s3, 0xc2ce8ed0
	s_load_dwordx4 s[8:11], s[6:7], 0x30
	s_load_dwordx2 s[0:1], s[4:5], 0x4
	s_mov_b32 s4, 0x42b17218
	v_mov_b32_e32 v12, 0x7f800000
	s_waitcnt lgkmcnt(0)
	s_mov_b32 s11, 0
	s_lshr_b32 s0, s0, 16
	v_mul_u32_u24_e32 v4, s1, v4
	s_mul_i32 s0, s0, s1
	v_mad_u32_u24 v3, s0, v3, v4
	v_add_lshl_u32 v3, v3, v5, 4
	s_cmp_lt_i32 s8, 1
	s_waitcnt vmcnt(0)
	v_max_f32_e32 v10, v7, v7
	v_max_f32_e32 v11, v6, v6
	;; [unrolled: 1-line block ×3, first 2 shown]
	v_max3_f32 v10, v10, v8, v9
	ds_bpermute_b32 v11, v0, v10
	s_waitcnt lgkmcnt(0)
	v_max_f32_e32 v11, v11, v11
	v_max_f32_e32 v10, v10, v11
	v_pk_add_f32 v[8:9], v[8:9], v[10:11] op_sel_hi:[1,0] neg_lo:[0,1] neg_hi:[0,1]
	v_pk_add_f32 v[6:7], v[6:7], v[10:11] op_sel_hi:[1,0] neg_lo:[0,1] neg_hi:[0,1]
	v_mul_f32_e32 v10, 0x3fb8aa3b, v9
	v_mul_f32_e32 v11, 0x3fb8aa3b, v8
	v_fma_f32 v15, v9, s2, -v10
	v_rndne_f32_e32 v16, v10
	v_mul_f32_e32 v13, 0x3fb8aa3b, v7
	v_fma_f32 v17, v8, s2, -v11
	v_rndne_f32_e32 v18, v11
	v_fmac_f32_e32 v15, 0x32a5705f, v9
	v_sub_f32_e32 v10, v10, v16
	v_mul_f32_e32 v14, 0x3fb8aa3b, v6
	v_fma_f32 v19, v7, s2, -v13
	v_rndne_f32_e32 v20, v13
	v_fmac_f32_e32 v17, 0x32a5705f, v8
	v_sub_f32_e32 v11, v11, v18
	v_add_f32_e32 v10, v10, v15
	v_fma_f32 v21, v6, s2, -v14
	v_rndne_f32_e32 v22, v14
	v_cvt_i32_f32_e32 v16, v16
	v_fmac_f32_e32 v19, 0x32a5705f, v7
	v_sub_f32_e32 v13, v13, v20
	v_add_f32_e32 v11, v11, v17
	v_exp_f32_e32 v10, v10
	v_cvt_i32_f32_e32 v18, v18
	v_fmac_f32_e32 v21, 0x32a5705f, v6
	v_sub_f32_e32 v14, v14, v22
	v_add_f32_e32 v13, v13, v19
	v_exp_f32_e32 v11, v11
	v_cvt_i32_f32_e32 v20, v20
	v_add_f32_e32 v14, v14, v21
	v_exp_f32_e32 v13, v13
	v_cvt_i32_f32_e32 v22, v22
	v_exp_f32_e32 v14, v14
	v_ldexp_f32 v10, v10, v16
	v_cmp_ngt_f32_e32 vcc, s3, v9
	v_ldexp_f32 v11, v11, v18
	v_cndmask_b32_e32 v10, 0, v10, vcc
	v_cmp_ngt_f32_e32 vcc, s3, v8
	v_ldexp_f32 v13, v13, v20
	v_cndmask_b32_e32 v11, 0, v11, vcc
	;; [unrolled: 3-line block ×3, first 2 shown]
	v_cmp_ngt_f32_e32 vcc, s3, v6
	v_cndmask_b32_e32 v14, 0, v14, vcc
	v_cmp_nlt_f32_e32 vcc, s4, v9
	v_cndmask_b32_e32 v9, v12, v10, vcc
	v_cmp_nlt_f32_e32 vcc, s4, v8
	v_cndmask_b32_e32 v8, v12, v11, vcc
	v_cmp_nlt_f32_e32 vcc, s4, v7
	v_cndmask_b32_e32 v7, v12, v13, vcc
	v_cmp_nlt_f32_e32 vcc, s4, v6
	v_cndmask_b32_e32 v6, v12, v14, vcc
	v_add_f32_e32 v10, v6, v7
	v_add_f32_e32 v10, v10, v8
	;; [unrolled: 1-line block ×3, first 2 shown]
	ds_bpermute_b32 v11, v0, v10
	s_waitcnt lgkmcnt(0)
	v_add_f32_e32 v4, v10, v11
	v_div_scale_f32 v10, s[0:1], v4, v4, 1.0
	v_rcp_f32_e32 v11, v10
	v_div_scale_f32 v5, vcc, 1.0, v4, 1.0
	v_fma_f32 v12, -v10, v11, 1.0
	v_fmac_f32_e32 v11, v12, v11
	v_mul_f32_e32 v12, v5, v11
	v_fma_f32 v13, -v10, v12, v5
	v_fmac_f32_e32 v12, v13, v11
	v_fma_f32 v5, -v10, v12, v5
	v_div_fmas_f32 v5, v5, v11, v12
	v_div_fixup_f32 v10, v5, v4, 1.0
	v_pk_mul_f32 v[4:5], v[10:11], v[6:7] op_sel_hi:[0,1]
	v_pk_mul_f32 v[6:7], v[10:11], v[8:9] op_sel_hi:[0,1]
	ds_write_b128 v3, v[4:7]
	s_cbranch_scc1 .LBB31_15
; %bb.5:
	s_load_dwordx4 s[4:7], s[6:7], 0x20
	v_lshlrev_b32_e32 v4, 2, v2
	v_cmp_eq_u32_e32 vcc, 0, v2
	v_mul_lo_u32 v5, v1, s8
	v_mov_b32_e32 v6, 0xc61c4000
	s_branch .LBB31_7
.LBB31_6:                               ;   in Loop: Header=BB31_7 Depth=1
	s_or_b64 exec, exec, s[0:1]
	s_cmp_lg_u32 s8, s11
	v_add_u32_e32 v1, s20, v1
	s_cbranch_scc0 .LBB31_15
.LBB31_7:                               ; =>This Inner Loop Header: Depth=1
	ds_read_b128 v[8:11], v3
	s_waitcnt lgkmcnt(0)
	v_cmp_gt_f32_e64 s[0:1], v9, v8
	v_cndmask_b32_e64 v7, v8, v9, s[0:1]
	v_cndmask_b32_e64 v8, 0, 1, s[0:1]
	v_cmp_gt_f32_e64 s[0:1], v10, v7
	v_cndmask_b32_e64 v7, v7, v10, s[0:1]
	v_cndmask_b32_e64 v9, v8, 2, s[0:1]
	;; [unrolled: 3-line block ×3, first 2 shown]
	ds_bpermute_b32 v9, v0, v8
	v_or_b32_e32 v7, v4, v7
	ds_bpermute_b32 v10, v0, v7
	s_waitcnt lgkmcnt(1)
	v_cmp_lt_f32_e64 s[16:17], v8, v9
	v_cmp_nlt_f32_e64 s[0:1], v8, v9
	s_and_saveexec_b64 s[18:19], s[0:1]
	s_cbranch_execnz .LBB31_13
; %bb.8:                                ;   in Loop: Header=BB31_7 Depth=1
	s_or_b64 exec, exec, s[18:19]
	s_and_saveexec_b64 s[0:1], s[16:17]
	s_cbranch_execnz .LBB31_14
.LBB31_9:                               ;   in Loop: Header=BB31_7 Depth=1
	s_or_b64 exec, exec, s[0:1]
	s_and_saveexec_b64 s[16:17], vcc
	s_cbranch_execz .LBB31_11
.LBB31_10:                              ;   in Loop: Header=BB31_7 Depth=1
	s_waitcnt lgkmcnt(0)
	v_add_u32_e32 v10, s11, v5
	v_ashrrev_i32_e32 v11, 31, v10
	v_cmp_le_i32_e64 s[0:1], s9, v7
	v_cmp_gt_i32_e64 s[2:3], s10, v7
	v_lshlrev_b64 v[10:11], 2, v[10:11]
	s_and_b64 s[2:3], s[0:1], s[2:3]
	v_mov_b32_e32 v9, s13
	v_add_co_u32_e64 v12, s[0:1], s12, v10
	v_addc_co_u32_e64 v13, s[0:1], v9, v11, s[0:1]
	global_store_dword v[12:13], v8, off
	v_subrev_u32_e32 v8, s9, v7
	s_and_b64 s[0:1], s[14:15], s[2:3]
	v_cndmask_b32_e64 v12, 8, v8, s[0:1]
	v_mov_b32_e32 v9, s5
	v_add_co_u32_e64 v8, s[0:1], s4, v10
	v_addc_co_u32_e64 v9, s[0:1], v9, v11, s[0:1]
	global_store_dword v[8:9], v12, off
	v_mov_b32_e32 v9, s7
	v_add_co_u32_e64 v8, s[0:1], s6, v10
	v_addc_co_u32_e64 v9, s[0:1], v9, v11, s[0:1]
	global_store_dword v[8:9], v1, off
.LBB31_11:                              ;   in Loop: Header=BB31_7 Depth=1
	s_or_b64 exec, exec, s[16:17]
	v_ashrrev_i32_e32 v8, 31, v7
	v_lshrrev_b32_e32 v9, 30, v8
	s_waitcnt lgkmcnt(0)
	v_add_u32_e32 v10, v7, v9
	v_ashrrev_i32_e32 v9, 2, v10
	v_lshrrev_b32_e32 v10, 31, v10
	v_add_u32_e32 v10, v9, v10
	s_add_i32 s11, s11, 1
	v_and_b32_e32 v10, -2, v10
	s_cmp_lt_i32 s11, s8
	v_sub_u32_e32 v10, v9, v10
	s_cselect_b64 s[2:3], -1, 0
	v_cmp_eq_u32_e64 s[0:1], v2, v10
	s_and_b64 s[2:3], s[2:3], s[0:1]
	s_and_saveexec_b64 s[0:1], s[2:3]
	s_cbranch_execz .LBB31_6
; %bb.12:                               ;   in Loop: Header=BB31_7 Depth=1
	v_lshrrev_b32_e32 v8, 29, v8
	v_add_u32_e32 v8, v7, v8
	v_lshlrev_b32_e32 v9, 2, v9
	v_lshrrev_b32_e32 v8, 1, v8
	v_sub_u32_e32 v7, v7, v9
	v_and_b32_e32 v8, 0x7ffffffc, v8
	v_add_u32_e32 v7, v8, v7
	v_lshl_add_u32 v7, v7, 2, v3
	ds_write_b32 v7, v6
	s_branch .LBB31_6
.LBB31_13:                              ;   in Loop: Header=BB31_7 Depth=1
	v_cmp_eq_f32_e64 s[0:1], v8, v9
	s_waitcnt lgkmcnt(0)
	v_cmp_lt_i32_e64 s[2:3], v10, v7
	s_and_b64 s[0:1], s[0:1], s[2:3]
	s_andn2_b64 s[2:3], s[16:17], exec
	s_and_b64 s[0:1], s[0:1], exec
	s_or_b64 s[16:17], s[2:3], s[0:1]
	s_or_b64 exec, exec, s[18:19]
	s_and_saveexec_b64 s[0:1], s[16:17]
	s_cbranch_execz .LBB31_9
.LBB31_14:                              ;   in Loop: Header=BB31_7 Depth=1
	v_mov_b32_e32 v8, v9
	s_waitcnt lgkmcnt(0)
	v_mov_b32_e32 v7, v10
	s_or_b64 exec, exec, s[0:1]
	s_and_saveexec_b64 s[16:17], vcc
	s_cbranch_execnz .LBB31_10
	s_branch .LBB31_11
.LBB31_15:
	s_endpgm
	.section	.rodata,"a",@progbits
	.p2align	6, 0x0
	.amdhsa_kernel _ZN4vllm3moe17topkGatingSoftmaxILi4ELi8ELi4ELi16ELi32EjEEvPKfPKbPfiPT4_Piiii
		.amdhsa_group_segment_fixed_size 2048
		.amdhsa_private_segment_fixed_size 0
		.amdhsa_kernarg_size 60
		.amdhsa_user_sgpr_count 8
		.amdhsa_user_sgpr_private_segment_buffer 1
		.amdhsa_user_sgpr_dispatch_ptr 1
		.amdhsa_user_sgpr_queue_ptr 0
		.amdhsa_user_sgpr_kernarg_segment_ptr 1
		.amdhsa_user_sgpr_dispatch_id 0
		.amdhsa_user_sgpr_flat_scratch_init 0
		.amdhsa_user_sgpr_kernarg_preload_length 0
		.amdhsa_user_sgpr_kernarg_preload_offset 0
		.amdhsa_user_sgpr_private_segment_size 0
		.amdhsa_uses_dynamic_stack 0
		.amdhsa_system_sgpr_private_segment_wavefront_offset 0
		.amdhsa_system_sgpr_workgroup_id_x 1
		.amdhsa_system_sgpr_workgroup_id_y 0
		.amdhsa_system_sgpr_workgroup_id_z 0
		.amdhsa_system_sgpr_workgroup_info 0
		.amdhsa_system_vgpr_workitem_id 2
		.amdhsa_next_free_vgpr 23
		.amdhsa_next_free_sgpr 21
		.amdhsa_accum_offset 24
		.amdhsa_reserve_vcc 1
		.amdhsa_reserve_flat_scratch 0
		.amdhsa_float_round_mode_32 0
		.amdhsa_float_round_mode_16_64 0
		.amdhsa_float_denorm_mode_32 3
		.amdhsa_float_denorm_mode_16_64 3
		.amdhsa_dx10_clamp 1
		.amdhsa_ieee_mode 1
		.amdhsa_fp16_overflow 0
		.amdhsa_tg_split 0
		.amdhsa_exception_fp_ieee_invalid_op 0
		.amdhsa_exception_fp_denorm_src 0
		.amdhsa_exception_fp_ieee_div_zero 0
		.amdhsa_exception_fp_ieee_overflow 0
		.amdhsa_exception_fp_ieee_underflow 0
		.amdhsa_exception_fp_ieee_inexact 0
		.amdhsa_exception_int_div_zero 0
	.end_amdhsa_kernel
	.section	.text._ZN4vllm3moe17topkGatingSoftmaxILi4ELi8ELi4ELi16ELi32EjEEvPKfPKbPfiPT4_Piiii,"axG",@progbits,_ZN4vllm3moe17topkGatingSoftmaxILi4ELi8ELi4ELi16ELi32EjEEvPKfPKbPfiPT4_Piiii,comdat
.Lfunc_end31:
	.size	_ZN4vllm3moe17topkGatingSoftmaxILi4ELi8ELi4ELi16ELi32EjEEvPKfPKbPfiPT4_Piiii, .Lfunc_end31-_ZN4vllm3moe17topkGatingSoftmaxILi4ELi8ELi4ELi16ELi32EjEEvPKfPKbPfiPT4_Piiii
                                        ; -- End function
	.section	.AMDGPU.csdata,"",@progbits
; Kernel info:
; codeLenInByte = 1344
; NumSgprs: 25
; NumVgprs: 23
; NumAgprs: 0
; TotalNumVgprs: 23
; ScratchSize: 0
; MemoryBound: 0
; FloatMode: 240
; IeeeMode: 1
; LDSByteSize: 2048 bytes/workgroup (compile time only)
; SGPRBlocks: 3
; VGPRBlocks: 2
; NumSGPRsForWavesPerEU: 25
; NumVGPRsForWavesPerEU: 23
; AccumOffset: 24
; Occupancy: 8
; WaveLimiterHint : 0
; COMPUTE_PGM_RSRC2:SCRATCH_EN: 0
; COMPUTE_PGM_RSRC2:USER_SGPR: 8
; COMPUTE_PGM_RSRC2:TRAP_HANDLER: 0
; COMPUTE_PGM_RSRC2:TGID_X_EN: 1
; COMPUTE_PGM_RSRC2:TGID_Y_EN: 0
; COMPUTE_PGM_RSRC2:TGID_Z_EN: 0
; COMPUTE_PGM_RSRC2:TIDIG_COMP_CNT: 2
; COMPUTE_PGM_RSRC3_GFX90A:ACCUM_OFFSET: 5
; COMPUTE_PGM_RSRC3_GFX90A:TG_SPLIT: 0
	.section	.text._ZN4vllm3moe17topkGatingSoftmaxILi4ELi16ELi4ELi16ELi64EjEEvPKfPKbPfiPT4_Piiii,"axG",@progbits,_ZN4vllm3moe17topkGatingSoftmaxILi4ELi16ELi4ELi16ELi64EjEEvPKfPKbPfiPT4_Piiii,comdat
	.protected	_ZN4vllm3moe17topkGatingSoftmaxILi4ELi16ELi4ELi16ELi64EjEEvPKfPKbPfiPT4_Piiii ; -- Begin function _ZN4vllm3moe17topkGatingSoftmaxILi4ELi16ELi4ELi16ELi64EjEEvPKfPKbPfiPT4_Piiii
	.globl	_ZN4vllm3moe17topkGatingSoftmaxILi4ELi16ELi4ELi16ELi64EjEEvPKfPKbPfiPT4_Piiii
	.p2align	8
	.type	_ZN4vllm3moe17topkGatingSoftmaxILi4ELi16ELi4ELi16ELi64EjEEvPKfPKbPfiPT4_Piiii,@function
_ZN4vllm3moe17topkGatingSoftmaxILi4ELi16ELi4ELi16ELi64EjEEvPKfPKbPfiPT4_Piiii: ; @_ZN4vllm3moe17topkGatingSoftmaxILi4ELi16ELi4ELi16ELi64EjEEvPKfPKbPfiPT4_Piiii
; %bb.0:
	s_load_dword s20, s[6:7], 0x18
	v_and_b32_e32 v5, 0x3ff, v0
	v_bfe_u32 v6, v0, 10, 10
	s_lshl_b32 s0, s8, 6
	v_lshlrev_b32_e32 v1, 4, v6
	v_lshrrev_b32_e32 v2, 2, v5
	v_add3_u32 v1, s0, v1, v2
	s_waitcnt lgkmcnt(0)
	v_cmp_gt_i32_e32 vcc, s20, v1
	s_and_saveexec_b64 s[0:1], vcc
	s_cbranch_execz .LBB32_19
; %bb.1:
	s_load_dwordx4 s[0:3], s[6:7], 0x0
	s_load_dwordx2 s[12:13], s[6:7], 0x10
	s_waitcnt lgkmcnt(0)
	s_cmp_eq_u64 s[2:3], 0
	s_cbranch_scc1 .LBB32_3
; %bb.2:
	v_ashrrev_i32_e32 v3, 31, v1
	v_mov_b32_e32 v4, s3
	v_add_co_u32_e32 v2, vcc, s2, v1
	v_addc_co_u32_e32 v3, vcc, v4, v3, vcc
	global_load_ubyte v2, v[2:3], off
	s_waitcnt vmcnt(0)
	v_and_b32_e32 v2, 1, v2
	v_cmp_eq_u32_e32 vcc, 1, v2
	s_xor_b64 s[2:3], vcc, -1
	s_orn2_b64 s[14:15], s[2:3], exec
	s_branch .LBB32_4
.LBB32_3:
	s_mov_b64 s[14:15], -1
.LBB32_4:
	v_lshlrev_b32_e32 v2, 4, v1
	v_ashrrev_i32_e32 v3, 31, v2
	v_lshlrev_b64 v[2:3], 2, v[2:3]
	v_mov_b32_e32 v4, s1
	v_add_co_u32_e32 v7, vcc, s0, v2
	v_and_b32_e32 v2, 3, v5
	v_addc_co_u32_e32 v3, vcc, v4, v3, vcc
	v_lshlrev_b32_e32 v4, 4, v2
	v_add_co_u32_e32 v8, vcc, v7, v4
	v_addc_co_u32_e32 v9, vcc, 0, v3, vcc
	global_load_dwordx4 v[8:11], v[8:9], off
	v_mbcnt_lo_u32_b32 v3, -1, 0
	v_mbcnt_hi_u32_b32 v4, -1, v3
	v_and_b32_e32 v3, 0x7c, v4
	v_xor_b32_e32 v7, 2, v4
	v_add_u32_e32 v12, 4, v3
	v_cmp_lt_i32_e32 vcc, v7, v12
	v_cndmask_b32_e32 v3, v4, v7, vcc
	v_lshlrev_b32_e32 v3, 2, v3
	v_xor_b32_e32 v14, 1, v4
	v_cmp_lt_i32_e32 vcc, v14, v12
	v_cndmask_b32_e32 v4, v4, v14, vcc
	v_lshlrev_b32_e32 v4, 2, v4
	s_mov_b32 s0, 0x3fb8aa3b
	s_mov_b32 s1, 0xc2ce8ed0
	;; [unrolled: 1-line block ×3, first 2 shown]
	v_bfe_u32 v0, v0, 20, 10
	s_waitcnt vmcnt(0)
	v_max_f32_e32 v7, v9, v9
	v_max_f32_e32 v13, v8, v8
	;; [unrolled: 1-line block ×3, first 2 shown]
	v_max3_f32 v7, v7, v10, v11
	ds_bpermute_b32 v13, v3, v7
	s_waitcnt lgkmcnt(0)
	v_max_f32_e32 v12, v13, v13
	v_max_f32_e32 v7, v7, v12
	ds_bpermute_b32 v12, v4, v7
	v_mov_b32_e32 v13, 0x7f800000
	s_waitcnt lgkmcnt(0)
	v_max_f32_e32 v12, v12, v12
	v_max_f32_e32 v12, v7, v12
	v_pk_add_f32 v[10:11], v[10:11], v[12:13] op_sel_hi:[1,0] neg_lo:[0,1] neg_hi:[0,1]
	v_mul_f32_e32 v7, 0x3fb8aa3b, v11
	v_pk_add_f32 v[8:9], v[8:9], v[12:13] op_sel_hi:[1,0] neg_lo:[0,1] neg_hi:[0,1]
	v_mul_f32_e32 v12, 0x3fb8aa3b, v10
	v_fma_f32 v16, v11, s0, -v7
	v_rndne_f32_e32 v17, v7
	v_mul_f32_e32 v14, 0x3fb8aa3b, v9
	v_fma_f32 v18, v10, s0, -v12
	v_rndne_f32_e32 v19, v12
	v_fmac_f32_e32 v16, 0x32a5705f, v11
	v_sub_f32_e32 v7, v7, v17
	v_mul_f32_e32 v15, 0x3fb8aa3b, v8
	v_fma_f32 v20, v9, s0, -v14
	v_rndne_f32_e32 v21, v14
	v_fmac_f32_e32 v18, 0x32a5705f, v10
	v_sub_f32_e32 v12, v12, v19
	v_add_f32_e32 v7, v7, v16
	v_fma_f32 v22, v8, s0, -v15
	v_rndne_f32_e32 v23, v15
	v_cvt_i32_f32_e32 v17, v17
	v_fmac_f32_e32 v20, 0x32a5705f, v9
	v_sub_f32_e32 v14, v14, v21
	v_add_f32_e32 v12, v12, v18
	v_exp_f32_e32 v7, v7
	v_cvt_i32_f32_e32 v19, v19
	v_fmac_f32_e32 v22, 0x32a5705f, v8
	v_sub_f32_e32 v15, v15, v23
	v_add_f32_e32 v14, v14, v20
	v_exp_f32_e32 v12, v12
	v_cvt_i32_f32_e32 v21, v21
	v_add_f32_e32 v15, v15, v22
	v_exp_f32_e32 v14, v14
	v_cvt_i32_f32_e32 v23, v23
	v_exp_f32_e32 v15, v15
	v_ldexp_f32 v7, v7, v17
	v_cmp_ngt_f32_e32 vcc, s1, v11
	v_ldexp_f32 v12, v12, v19
	v_cndmask_b32_e32 v7, 0, v7, vcc
	v_cmp_ngt_f32_e32 vcc, s1, v10
	v_ldexp_f32 v14, v14, v21
	v_cndmask_b32_e32 v12, 0, v12, vcc
	;; [unrolled: 3-line block ×3, first 2 shown]
	v_cmp_ngt_f32_e32 vcc, s1, v8
	v_cndmask_b32_e32 v15, 0, v15, vcc
	v_cmp_nlt_f32_e32 vcc, s2, v11
	v_cndmask_b32_e32 v11, v13, v7, vcc
	v_cmp_nlt_f32_e32 vcc, s2, v10
	v_cndmask_b32_e32 v10, v13, v12, vcc
	v_cmp_nlt_f32_e32 vcc, s2, v9
	v_cndmask_b32_e32 v9, v13, v14, vcc
	v_cmp_nlt_f32_e32 vcc, s2, v8
	v_cndmask_b32_e32 v8, v13, v15, vcc
	v_add_f32_e32 v7, v8, v9
	v_add_f32_e32 v7, v7, v10
	;; [unrolled: 1-line block ×3, first 2 shown]
	ds_bpermute_b32 v12, v3, v7
	s_load_dwordx4 s[8:11], s[6:7], 0x30
	s_load_dwordx2 s[0:1], s[4:5], 0x4
	s_waitcnt lgkmcnt(0)
	s_mov_b32 s11, 0
	v_add_f32_e32 v7, v7, v12
	ds_bpermute_b32 v12, v4, v7
	s_lshr_b32 s0, s0, 16
	s_mul_i32 s0, s0, s1
	v_mul_lo_u32 v5, s0, v5
	v_mad_u32_u24 v5, v6, s1, v5
	s_waitcnt lgkmcnt(0)
	v_add_f32_e32 v6, v7, v12
	v_div_scale_f32 v7, s[0:1], v6, v6, 1.0
	v_rcp_f32_e32 v12, v7
	v_add_lshl_u32 v0, v5, v0, 4
	v_div_scale_f32 v5, vcc, 1.0, v6, 1.0
	v_fma_f32 v13, -v7, v12, 1.0
	v_fmac_f32_e32 v12, v13, v12
	v_mul_f32_e32 v13, v5, v12
	v_fma_f32 v14, -v7, v13, v5
	v_fmac_f32_e32 v13, v14, v12
	v_fma_f32 v5, -v7, v13, v5
	v_div_fmas_f32 v5, v5, v12, v13
	v_div_fixup_f32 v12, v5, v6, 1.0
	v_pk_mul_f32 v[6:7], v[12:13], v[8:9] op_sel_hi:[0,1]
	v_pk_mul_f32 v[8:9], v[12:13], v[10:11] op_sel_hi:[0,1]
	s_cmp_lt_i32 s8, 1
	ds_write_b128 v0, v[6:9]
	s_cbranch_scc1 .LBB32_19
; %bb.5:
	s_load_dwordx4 s[4:7], s[6:7], 0x20
	v_lshlrev_b32_e32 v5, 2, v2
	v_cmp_eq_u32_e32 vcc, 0, v2
	v_mul_lo_u32 v6, v1, s8
	v_mov_b32_e32 v7, 0xc61c4000
	s_branch .LBB32_7
.LBB32_6:                               ;   in Loop: Header=BB32_7 Depth=1
	s_or_b64 exec, exec, s[0:1]
	s_cmp_lg_u32 s8, s11
	v_add_u32_e32 v1, s20, v1
	s_cbranch_scc0 .LBB32_19
.LBB32_7:                               ; =>This Inner Loop Header: Depth=1
	ds_read_b128 v[8:11], v0
	s_waitcnt lgkmcnt(0)
	v_cmp_gt_f32_e64 s[0:1], v9, v8
	v_cndmask_b32_e64 v8, v8, v9, s[0:1]
	v_cndmask_b32_e64 v9, 0, 1, s[0:1]
	v_cmp_gt_f32_e64 s[0:1], v10, v8
	v_cndmask_b32_e64 v8, v8, v10, s[0:1]
	v_cndmask_b32_e64 v10, v9, 2, s[0:1]
	;; [unrolled: 3-line block ×3, first 2 shown]
	ds_bpermute_b32 v10, v3, v9
	v_or_b32_e32 v8, v5, v8
	ds_bpermute_b32 v11, v3, v8
	s_waitcnt lgkmcnt(1)
	v_cmp_lt_f32_e64 s[16:17], v9, v10
	v_cmp_nlt_f32_e64 s[0:1], v9, v10
	s_and_saveexec_b64 s[18:19], s[0:1]
	s_cbranch_execz .LBB32_9
; %bb.8:                                ;   in Loop: Header=BB32_7 Depth=1
	v_cmp_eq_f32_e64 s[0:1], v9, v10
	s_waitcnt lgkmcnt(0)
	v_cmp_lt_i32_e64 s[2:3], v11, v8
	s_and_b64 s[0:1], s[0:1], s[2:3]
	s_andn2_b64 s[2:3], s[16:17], exec
	s_and_b64 s[0:1], s[0:1], exec
	s_or_b64 s[16:17], s[2:3], s[0:1]
.LBB32_9:                               ;   in Loop: Header=BB32_7 Depth=1
	s_or_b64 exec, exec, s[18:19]
	s_and_saveexec_b64 s[0:1], s[16:17]
	s_cbranch_execz .LBB32_11
; %bb.10:                               ;   in Loop: Header=BB32_7 Depth=1
	v_mov_b32_e32 v9, v10
	s_waitcnt lgkmcnt(0)
	v_mov_b32_e32 v8, v11
.LBB32_11:                              ;   in Loop: Header=BB32_7 Depth=1
	s_or_b64 exec, exec, s[0:1]
	ds_bpermute_b32 v10, v4, v9
	s_waitcnt lgkmcnt(1)
	ds_bpermute_b32 v11, v4, v8
	s_waitcnt lgkmcnt(1)
	v_cmp_lt_f32_e64 s[16:17], v9, v10
	v_cmp_nlt_f32_e64 s[0:1], v9, v10
	s_and_saveexec_b64 s[18:19], s[0:1]
	s_cbranch_execnz .LBB32_17
; %bb.12:                               ;   in Loop: Header=BB32_7 Depth=1
	s_or_b64 exec, exec, s[18:19]
	s_and_saveexec_b64 s[0:1], s[16:17]
	s_cbranch_execnz .LBB32_18
.LBB32_13:                              ;   in Loop: Header=BB32_7 Depth=1
	s_or_b64 exec, exec, s[0:1]
	s_and_saveexec_b64 s[16:17], vcc
	s_cbranch_execz .LBB32_15
.LBB32_14:                              ;   in Loop: Header=BB32_7 Depth=1
	v_add_u32_e32 v10, s11, v6
	s_waitcnt lgkmcnt(0)
	v_ashrrev_i32_e32 v11, 31, v10
	v_cmp_le_i32_e64 s[0:1], s9, v8
	v_cmp_gt_i32_e64 s[2:3], s10, v8
	v_lshlrev_b64 v[10:11], 2, v[10:11]
	s_and_b64 s[2:3], s[0:1], s[2:3]
	v_mov_b32_e32 v13, s13
	v_add_co_u32_e64 v12, s[0:1], s12, v10
	v_addc_co_u32_e64 v13, s[0:1], v13, v11, s[0:1]
	global_store_dword v[12:13], v9, off
	v_subrev_u32_e32 v9, s9, v8
	s_and_b64 s[0:1], s[14:15], s[2:3]
	v_cndmask_b32_e64 v9, 16, v9, s[0:1]
	v_mov_b32_e32 v13, s5
	v_add_co_u32_e64 v12, s[0:1], s4, v10
	v_addc_co_u32_e64 v13, s[0:1], v13, v11, s[0:1]
	global_store_dword v[12:13], v9, off
	v_mov_b32_e32 v9, s7
	v_add_co_u32_e64 v10, s[0:1], s6, v10
	v_addc_co_u32_e64 v11, s[0:1], v9, v11, s[0:1]
	global_store_dword v[10:11], v1, off
.LBB32_15:                              ;   in Loop: Header=BB32_7 Depth=1
	s_or_b64 exec, exec, s[16:17]
	v_ashrrev_i32_e32 v9, 31, v8
	v_lshrrev_b32_e32 v10, 30, v9
	v_add_u32_e32 v10, v8, v10
	v_ashrrev_i32_e32 v10, 2, v10
	s_waitcnt lgkmcnt(0)
	v_lshrrev_b32_e32 v11, 30, v10
	v_add_u32_e32 v11, v10, v11
	s_add_i32 s11, s11, 1
	v_and_b32_e32 v11, -4, v11
	s_cmp_lt_i32 s11, s8
	v_sub_u32_e32 v11, v10, v11
	s_cselect_b64 s[2:3], -1, 0
	v_cmp_eq_u32_e64 s[0:1], v2, v11
	s_and_b64 s[2:3], s[2:3], s[0:1]
	s_and_saveexec_b64 s[0:1], s[2:3]
	s_cbranch_execz .LBB32_6
; %bb.16:                               ;   in Loop: Header=BB32_7 Depth=1
	v_lshrrev_b32_e32 v9, 28, v9
	v_add_u32_e32 v9, v8, v9
	v_lshlrev_b32_e32 v10, 2, v10
	v_lshrrev_b32_e32 v9, 2, v9
	v_sub_u32_e32 v8, v8, v10
	v_and_b32_e32 v9, 0x3ffffffc, v9
	v_add_u32_e32 v8, v9, v8
	v_lshl_add_u32 v8, v8, 2, v0
	ds_write_b32 v8, v7
	s_branch .LBB32_6
.LBB32_17:                              ;   in Loop: Header=BB32_7 Depth=1
	v_cmp_eq_f32_e64 s[0:1], v9, v10
	s_waitcnt lgkmcnt(0)
	v_cmp_lt_i32_e64 s[2:3], v11, v8
	s_and_b64 s[0:1], s[0:1], s[2:3]
	s_andn2_b64 s[2:3], s[16:17], exec
	s_and_b64 s[0:1], s[0:1], exec
	s_or_b64 s[16:17], s[2:3], s[0:1]
	s_or_b64 exec, exec, s[18:19]
	s_and_saveexec_b64 s[0:1], s[16:17]
	s_cbranch_execz .LBB32_13
.LBB32_18:                              ;   in Loop: Header=BB32_7 Depth=1
	v_mov_b32_e32 v9, v10
	s_waitcnt lgkmcnt(0)
	v_mov_b32_e32 v8, v11
	s_or_b64 exec, exec, s[0:1]
	s_and_saveexec_b64 s[16:17], vcc
	s_cbranch_execnz .LBB32_14
	s_branch .LBB32_15
.LBB32_19:
	s_endpgm
	.section	.rodata,"a",@progbits
	.p2align	6, 0x0
	.amdhsa_kernel _ZN4vllm3moe17topkGatingSoftmaxILi4ELi16ELi4ELi16ELi64EjEEvPKfPKbPfiPT4_Piiii
		.amdhsa_group_segment_fixed_size 4096
		.amdhsa_private_segment_fixed_size 0
		.amdhsa_kernarg_size 60
		.amdhsa_user_sgpr_count 8
		.amdhsa_user_sgpr_private_segment_buffer 1
		.amdhsa_user_sgpr_dispatch_ptr 1
		.amdhsa_user_sgpr_queue_ptr 0
		.amdhsa_user_sgpr_kernarg_segment_ptr 1
		.amdhsa_user_sgpr_dispatch_id 0
		.amdhsa_user_sgpr_flat_scratch_init 0
		.amdhsa_user_sgpr_kernarg_preload_length 0
		.amdhsa_user_sgpr_kernarg_preload_offset 0
		.amdhsa_user_sgpr_private_segment_size 0
		.amdhsa_uses_dynamic_stack 0
		.amdhsa_system_sgpr_private_segment_wavefront_offset 0
		.amdhsa_system_sgpr_workgroup_id_x 1
		.amdhsa_system_sgpr_workgroup_id_y 0
		.amdhsa_system_sgpr_workgroup_id_z 0
		.amdhsa_system_sgpr_workgroup_info 0
		.amdhsa_system_vgpr_workitem_id 2
		.amdhsa_next_free_vgpr 24
		.amdhsa_next_free_sgpr 21
		.amdhsa_accum_offset 24
		.amdhsa_reserve_vcc 1
		.amdhsa_reserve_flat_scratch 0
		.amdhsa_float_round_mode_32 0
		.amdhsa_float_round_mode_16_64 0
		.amdhsa_float_denorm_mode_32 3
		.amdhsa_float_denorm_mode_16_64 3
		.amdhsa_dx10_clamp 1
		.amdhsa_ieee_mode 1
		.amdhsa_fp16_overflow 0
		.amdhsa_tg_split 0
		.amdhsa_exception_fp_ieee_invalid_op 0
		.amdhsa_exception_fp_denorm_src 0
		.amdhsa_exception_fp_ieee_div_zero 0
		.amdhsa_exception_fp_ieee_overflow 0
		.amdhsa_exception_fp_ieee_underflow 0
		.amdhsa_exception_fp_ieee_inexact 0
		.amdhsa_exception_int_div_zero 0
	.end_amdhsa_kernel
	.section	.text._ZN4vllm3moe17topkGatingSoftmaxILi4ELi16ELi4ELi16ELi64EjEEvPKfPKbPfiPT4_Piiii,"axG",@progbits,_ZN4vllm3moe17topkGatingSoftmaxILi4ELi16ELi4ELi16ELi64EjEEvPKfPKbPfiPT4_Piiii,comdat
.Lfunc_end32:
	.size	_ZN4vllm3moe17topkGatingSoftmaxILi4ELi16ELi4ELi16ELi64EjEEvPKfPKbPfiPT4_Piiii, .Lfunc_end32-_ZN4vllm3moe17topkGatingSoftmaxILi4ELi16ELi4ELi16ELi64EjEEvPKfPKbPfiPT4_Piiii
                                        ; -- End function
	.section	.AMDGPU.csdata,"",@progbits
; Kernel info:
; codeLenInByte = 1508
; NumSgprs: 25
; NumVgprs: 24
; NumAgprs: 0
; TotalNumVgprs: 24
; ScratchSize: 0
; MemoryBound: 0
; FloatMode: 240
; IeeeMode: 1
; LDSByteSize: 4096 bytes/workgroup (compile time only)
; SGPRBlocks: 3
; VGPRBlocks: 2
; NumSGPRsForWavesPerEU: 25
; NumVGPRsForWavesPerEU: 24
; AccumOffset: 24
; Occupancy: 8
; WaveLimiterHint : 0
; COMPUTE_PGM_RSRC2:SCRATCH_EN: 0
; COMPUTE_PGM_RSRC2:USER_SGPR: 8
; COMPUTE_PGM_RSRC2:TRAP_HANDLER: 0
; COMPUTE_PGM_RSRC2:TGID_X_EN: 1
; COMPUTE_PGM_RSRC2:TGID_Y_EN: 0
; COMPUTE_PGM_RSRC2:TGID_Z_EN: 0
; COMPUTE_PGM_RSRC2:TIDIG_COMP_CNT: 2
; COMPUTE_PGM_RSRC3_GFX90A:ACCUM_OFFSET: 5
; COMPUTE_PGM_RSRC3_GFX90A:TG_SPLIT: 0
	.section	.text._ZN4vllm3moe17topkGatingSoftmaxILi4ELi16ELi4ELi16ELi32EjEEvPKfPKbPfiPT4_Piiii,"axG",@progbits,_ZN4vllm3moe17topkGatingSoftmaxILi4ELi16ELi4ELi16ELi32EjEEvPKfPKbPfiPT4_Piiii,comdat
	.protected	_ZN4vllm3moe17topkGatingSoftmaxILi4ELi16ELi4ELi16ELi32EjEEvPKfPKbPfiPT4_Piiii ; -- Begin function _ZN4vllm3moe17topkGatingSoftmaxILi4ELi16ELi4ELi16ELi32EjEEvPKfPKbPfiPT4_Piiii
	.globl	_ZN4vllm3moe17topkGatingSoftmaxILi4ELi16ELi4ELi16ELi32EjEEvPKfPKbPfiPT4_Piiii
	.p2align	8
	.type	_ZN4vllm3moe17topkGatingSoftmaxILi4ELi16ELi4ELi16ELi32EjEEvPKfPKbPfiPT4_Piiii,@function
_ZN4vllm3moe17topkGatingSoftmaxILi4ELi16ELi4ELi16ELi32EjEEvPKfPKbPfiPT4_Piiii: ; @_ZN4vllm3moe17topkGatingSoftmaxILi4ELi16ELi4ELi16ELi32EjEEvPKfPKbPfiPT4_Piiii
; %bb.0:
	s_load_dword s20, s[6:7], 0x18
	v_and_b32_e32 v5, 0x3ff, v0
	v_bfe_u32 v6, v0, 10, 10
	s_lshl_b32 s0, s8, 5
	v_lshlrev_b32_e32 v1, 3, v6
	v_lshrrev_b32_e32 v2, 2, v5
	v_add3_u32 v1, s0, v1, v2
	s_waitcnt lgkmcnt(0)
	v_cmp_gt_i32_e32 vcc, s20, v1
	s_and_saveexec_b64 s[0:1], vcc
	s_cbranch_execz .LBB33_19
; %bb.1:
	s_load_dwordx4 s[0:3], s[6:7], 0x0
	s_load_dwordx2 s[12:13], s[6:7], 0x10
	s_waitcnt lgkmcnt(0)
	s_cmp_eq_u64 s[2:3], 0
	s_cbranch_scc1 .LBB33_3
; %bb.2:
	v_ashrrev_i32_e32 v3, 31, v1
	v_mov_b32_e32 v4, s3
	v_add_co_u32_e32 v2, vcc, s2, v1
	v_addc_co_u32_e32 v3, vcc, v4, v3, vcc
	global_load_ubyte v2, v[2:3], off
	s_waitcnt vmcnt(0)
	v_and_b32_e32 v2, 1, v2
	v_cmp_eq_u32_e32 vcc, 1, v2
	s_xor_b64 s[2:3], vcc, -1
	s_orn2_b64 s[14:15], s[2:3], exec
	s_branch .LBB33_4
.LBB33_3:
	s_mov_b64 s[14:15], -1
.LBB33_4:
	v_lshlrev_b32_e32 v2, 4, v1
	v_ashrrev_i32_e32 v3, 31, v2
	v_lshlrev_b64 v[2:3], 2, v[2:3]
	v_mov_b32_e32 v4, s1
	v_add_co_u32_e32 v7, vcc, s0, v2
	v_and_b32_e32 v2, 3, v5
	v_addc_co_u32_e32 v3, vcc, v4, v3, vcc
	v_lshlrev_b32_e32 v4, 4, v2
	v_add_co_u32_e32 v8, vcc, v7, v4
	v_addc_co_u32_e32 v9, vcc, 0, v3, vcc
	global_load_dwordx4 v[8:11], v[8:9], off
	v_mbcnt_lo_u32_b32 v3, -1, 0
	v_mbcnt_hi_u32_b32 v4, -1, v3
	v_and_b32_e32 v3, 0x7c, v4
	v_xor_b32_e32 v7, 2, v4
	v_add_u32_e32 v12, 4, v3
	v_cmp_lt_i32_e32 vcc, v7, v12
	v_cndmask_b32_e32 v3, v4, v7, vcc
	v_lshlrev_b32_e32 v3, 2, v3
	v_xor_b32_e32 v14, 1, v4
	v_cmp_lt_i32_e32 vcc, v14, v12
	v_cndmask_b32_e32 v4, v4, v14, vcc
	v_lshlrev_b32_e32 v4, 2, v4
	s_mov_b32 s0, 0x3fb8aa3b
	s_mov_b32 s1, 0xc2ce8ed0
	;; [unrolled: 1-line block ×3, first 2 shown]
	v_bfe_u32 v0, v0, 20, 10
	s_waitcnt vmcnt(0)
	v_max_f32_e32 v7, v9, v9
	v_max_f32_e32 v13, v8, v8
	;; [unrolled: 1-line block ×3, first 2 shown]
	v_max3_f32 v7, v7, v10, v11
	ds_bpermute_b32 v13, v3, v7
	s_waitcnt lgkmcnt(0)
	v_max_f32_e32 v12, v13, v13
	v_max_f32_e32 v7, v7, v12
	ds_bpermute_b32 v12, v4, v7
	v_mov_b32_e32 v13, 0x7f800000
	s_waitcnt lgkmcnt(0)
	v_max_f32_e32 v12, v12, v12
	v_max_f32_e32 v12, v7, v12
	v_pk_add_f32 v[10:11], v[10:11], v[12:13] op_sel_hi:[1,0] neg_lo:[0,1] neg_hi:[0,1]
	v_mul_f32_e32 v7, 0x3fb8aa3b, v11
	v_pk_add_f32 v[8:9], v[8:9], v[12:13] op_sel_hi:[1,0] neg_lo:[0,1] neg_hi:[0,1]
	v_mul_f32_e32 v12, 0x3fb8aa3b, v10
	v_fma_f32 v16, v11, s0, -v7
	v_rndne_f32_e32 v17, v7
	v_mul_f32_e32 v14, 0x3fb8aa3b, v9
	v_fma_f32 v18, v10, s0, -v12
	v_rndne_f32_e32 v19, v12
	v_fmac_f32_e32 v16, 0x32a5705f, v11
	v_sub_f32_e32 v7, v7, v17
	v_mul_f32_e32 v15, 0x3fb8aa3b, v8
	v_fma_f32 v20, v9, s0, -v14
	v_rndne_f32_e32 v21, v14
	v_fmac_f32_e32 v18, 0x32a5705f, v10
	v_sub_f32_e32 v12, v12, v19
	v_add_f32_e32 v7, v7, v16
	v_fma_f32 v22, v8, s0, -v15
	v_rndne_f32_e32 v23, v15
	v_cvt_i32_f32_e32 v17, v17
	v_fmac_f32_e32 v20, 0x32a5705f, v9
	v_sub_f32_e32 v14, v14, v21
	v_add_f32_e32 v12, v12, v18
	v_exp_f32_e32 v7, v7
	v_cvt_i32_f32_e32 v19, v19
	v_fmac_f32_e32 v22, 0x32a5705f, v8
	v_sub_f32_e32 v15, v15, v23
	v_add_f32_e32 v14, v14, v20
	v_exp_f32_e32 v12, v12
	v_cvt_i32_f32_e32 v21, v21
	v_add_f32_e32 v15, v15, v22
	v_exp_f32_e32 v14, v14
	v_cvt_i32_f32_e32 v23, v23
	v_exp_f32_e32 v15, v15
	v_ldexp_f32 v7, v7, v17
	v_cmp_ngt_f32_e32 vcc, s1, v11
	v_ldexp_f32 v12, v12, v19
	v_cndmask_b32_e32 v7, 0, v7, vcc
	v_cmp_ngt_f32_e32 vcc, s1, v10
	v_ldexp_f32 v14, v14, v21
	v_cndmask_b32_e32 v12, 0, v12, vcc
	;; [unrolled: 3-line block ×3, first 2 shown]
	v_cmp_ngt_f32_e32 vcc, s1, v8
	v_cndmask_b32_e32 v15, 0, v15, vcc
	v_cmp_nlt_f32_e32 vcc, s2, v11
	v_cndmask_b32_e32 v11, v13, v7, vcc
	v_cmp_nlt_f32_e32 vcc, s2, v10
	;; [unrolled: 2-line block ×4, first 2 shown]
	v_cndmask_b32_e32 v8, v13, v15, vcc
	v_add_f32_e32 v7, v8, v9
	v_add_f32_e32 v7, v7, v10
	;; [unrolled: 1-line block ×3, first 2 shown]
	ds_bpermute_b32 v12, v3, v7
	s_load_dwordx4 s[8:11], s[6:7], 0x30
	s_load_dwordx2 s[0:1], s[4:5], 0x4
	s_waitcnt lgkmcnt(0)
	s_mov_b32 s11, 0
	v_add_f32_e32 v7, v7, v12
	ds_bpermute_b32 v12, v4, v7
	s_lshr_b32 s0, s0, 16
	v_mul_u32_u24_e32 v6, s1, v6
	s_mul_i32 s0, s0, s1
	v_mad_u32_u24 v5, s0, v5, v6
	s_waitcnt lgkmcnt(0)
	v_add_f32_e32 v6, v7, v12
	v_div_scale_f32 v7, s[0:1], v6, v6, 1.0
	v_rcp_f32_e32 v12, v7
	v_add_lshl_u32 v0, v5, v0, 4
	v_div_scale_f32 v5, vcc, 1.0, v6, 1.0
	v_fma_f32 v13, -v7, v12, 1.0
	v_fmac_f32_e32 v12, v13, v12
	v_mul_f32_e32 v13, v5, v12
	v_fma_f32 v14, -v7, v13, v5
	v_fmac_f32_e32 v13, v14, v12
	v_fma_f32 v5, -v7, v13, v5
	v_div_fmas_f32 v5, v5, v12, v13
	v_div_fixup_f32 v12, v5, v6, 1.0
	v_pk_mul_f32 v[6:7], v[12:13], v[8:9] op_sel_hi:[0,1]
	v_pk_mul_f32 v[8:9], v[12:13], v[10:11] op_sel_hi:[0,1]
	s_cmp_lt_i32 s8, 1
	ds_write_b128 v0, v[6:9]
	s_cbranch_scc1 .LBB33_19
; %bb.5:
	s_load_dwordx4 s[4:7], s[6:7], 0x20
	v_lshlrev_b32_e32 v5, 2, v2
	v_cmp_eq_u32_e32 vcc, 0, v2
	v_mul_lo_u32 v6, v1, s8
	v_mov_b32_e32 v7, 0xc61c4000
	s_branch .LBB33_7
.LBB33_6:                               ;   in Loop: Header=BB33_7 Depth=1
	s_or_b64 exec, exec, s[0:1]
	s_cmp_lg_u32 s8, s11
	v_add_u32_e32 v1, s20, v1
	s_cbranch_scc0 .LBB33_19
.LBB33_7:                               ; =>This Inner Loop Header: Depth=1
	ds_read_b128 v[8:11], v0
	s_waitcnt lgkmcnt(0)
	v_cmp_gt_f32_e64 s[0:1], v9, v8
	v_cndmask_b32_e64 v8, v8, v9, s[0:1]
	v_cndmask_b32_e64 v9, 0, 1, s[0:1]
	v_cmp_gt_f32_e64 s[0:1], v10, v8
	v_cndmask_b32_e64 v8, v8, v10, s[0:1]
	v_cndmask_b32_e64 v10, v9, 2, s[0:1]
	;; [unrolled: 3-line block ×3, first 2 shown]
	ds_bpermute_b32 v10, v3, v9
	v_or_b32_e32 v8, v5, v8
	ds_bpermute_b32 v11, v3, v8
	s_waitcnt lgkmcnt(1)
	v_cmp_lt_f32_e64 s[16:17], v9, v10
	v_cmp_nlt_f32_e64 s[0:1], v9, v10
	s_and_saveexec_b64 s[18:19], s[0:1]
	s_cbranch_execz .LBB33_9
; %bb.8:                                ;   in Loop: Header=BB33_7 Depth=1
	v_cmp_eq_f32_e64 s[0:1], v9, v10
	s_waitcnt lgkmcnt(0)
	v_cmp_lt_i32_e64 s[2:3], v11, v8
	s_and_b64 s[0:1], s[0:1], s[2:3]
	s_andn2_b64 s[2:3], s[16:17], exec
	s_and_b64 s[0:1], s[0:1], exec
	s_or_b64 s[16:17], s[2:3], s[0:1]
.LBB33_9:                               ;   in Loop: Header=BB33_7 Depth=1
	s_or_b64 exec, exec, s[18:19]
	s_and_saveexec_b64 s[0:1], s[16:17]
	s_cbranch_execz .LBB33_11
; %bb.10:                               ;   in Loop: Header=BB33_7 Depth=1
	v_mov_b32_e32 v9, v10
	s_waitcnt lgkmcnt(0)
	v_mov_b32_e32 v8, v11
.LBB33_11:                              ;   in Loop: Header=BB33_7 Depth=1
	s_or_b64 exec, exec, s[0:1]
	ds_bpermute_b32 v10, v4, v9
	s_waitcnt lgkmcnt(1)
	ds_bpermute_b32 v11, v4, v8
	s_waitcnt lgkmcnt(1)
	v_cmp_lt_f32_e64 s[16:17], v9, v10
	v_cmp_nlt_f32_e64 s[0:1], v9, v10
	s_and_saveexec_b64 s[18:19], s[0:1]
	s_cbranch_execnz .LBB33_17
; %bb.12:                               ;   in Loop: Header=BB33_7 Depth=1
	s_or_b64 exec, exec, s[18:19]
	s_and_saveexec_b64 s[0:1], s[16:17]
	s_cbranch_execnz .LBB33_18
.LBB33_13:                              ;   in Loop: Header=BB33_7 Depth=1
	s_or_b64 exec, exec, s[0:1]
	s_and_saveexec_b64 s[16:17], vcc
	s_cbranch_execz .LBB33_15
.LBB33_14:                              ;   in Loop: Header=BB33_7 Depth=1
	v_add_u32_e32 v10, s11, v6
	s_waitcnt lgkmcnt(0)
	v_ashrrev_i32_e32 v11, 31, v10
	v_cmp_le_i32_e64 s[0:1], s9, v8
	v_cmp_gt_i32_e64 s[2:3], s10, v8
	v_lshlrev_b64 v[10:11], 2, v[10:11]
	s_and_b64 s[2:3], s[0:1], s[2:3]
	v_mov_b32_e32 v13, s13
	v_add_co_u32_e64 v12, s[0:1], s12, v10
	v_addc_co_u32_e64 v13, s[0:1], v13, v11, s[0:1]
	global_store_dword v[12:13], v9, off
	v_subrev_u32_e32 v9, s9, v8
	s_and_b64 s[0:1], s[14:15], s[2:3]
	v_cndmask_b32_e64 v9, 16, v9, s[0:1]
	v_mov_b32_e32 v13, s5
	v_add_co_u32_e64 v12, s[0:1], s4, v10
	v_addc_co_u32_e64 v13, s[0:1], v13, v11, s[0:1]
	global_store_dword v[12:13], v9, off
	v_mov_b32_e32 v9, s7
	v_add_co_u32_e64 v10, s[0:1], s6, v10
	v_addc_co_u32_e64 v11, s[0:1], v9, v11, s[0:1]
	global_store_dword v[10:11], v1, off
.LBB33_15:                              ;   in Loop: Header=BB33_7 Depth=1
	s_or_b64 exec, exec, s[16:17]
	v_ashrrev_i32_e32 v9, 31, v8
	v_lshrrev_b32_e32 v10, 30, v9
	v_add_u32_e32 v10, v8, v10
	v_ashrrev_i32_e32 v10, 2, v10
	s_waitcnt lgkmcnt(0)
	v_lshrrev_b32_e32 v11, 30, v10
	v_add_u32_e32 v11, v10, v11
	s_add_i32 s11, s11, 1
	v_and_b32_e32 v11, -4, v11
	s_cmp_lt_i32 s11, s8
	v_sub_u32_e32 v11, v10, v11
	s_cselect_b64 s[2:3], -1, 0
	v_cmp_eq_u32_e64 s[0:1], v2, v11
	s_and_b64 s[2:3], s[2:3], s[0:1]
	s_and_saveexec_b64 s[0:1], s[2:3]
	s_cbranch_execz .LBB33_6
; %bb.16:                               ;   in Loop: Header=BB33_7 Depth=1
	v_lshrrev_b32_e32 v9, 28, v9
	v_add_u32_e32 v9, v8, v9
	v_lshlrev_b32_e32 v10, 2, v10
	v_lshrrev_b32_e32 v9, 2, v9
	v_sub_u32_e32 v8, v8, v10
	v_and_b32_e32 v9, 0x3ffffffc, v9
	v_add_u32_e32 v8, v9, v8
	v_lshl_add_u32 v8, v8, 2, v0
	ds_write_b32 v8, v7
	s_branch .LBB33_6
.LBB33_17:                              ;   in Loop: Header=BB33_7 Depth=1
	v_cmp_eq_f32_e64 s[0:1], v9, v10
	s_waitcnt lgkmcnt(0)
	v_cmp_lt_i32_e64 s[2:3], v11, v8
	s_and_b64 s[0:1], s[0:1], s[2:3]
	s_andn2_b64 s[2:3], s[16:17], exec
	s_and_b64 s[0:1], s[0:1], exec
	s_or_b64 s[16:17], s[2:3], s[0:1]
	s_or_b64 exec, exec, s[18:19]
	s_and_saveexec_b64 s[0:1], s[16:17]
	s_cbranch_execz .LBB33_13
.LBB33_18:                              ;   in Loop: Header=BB33_7 Depth=1
	v_mov_b32_e32 v9, v10
	s_waitcnt lgkmcnt(0)
	v_mov_b32_e32 v8, v11
	s_or_b64 exec, exec, s[0:1]
	s_and_saveexec_b64 s[16:17], vcc
	s_cbranch_execnz .LBB33_14
	s_branch .LBB33_15
.LBB33_19:
	s_endpgm
	.section	.rodata,"a",@progbits
	.p2align	6, 0x0
	.amdhsa_kernel _ZN4vllm3moe17topkGatingSoftmaxILi4ELi16ELi4ELi16ELi32EjEEvPKfPKbPfiPT4_Piiii
		.amdhsa_group_segment_fixed_size 2048
		.amdhsa_private_segment_fixed_size 0
		.amdhsa_kernarg_size 60
		.amdhsa_user_sgpr_count 8
		.amdhsa_user_sgpr_private_segment_buffer 1
		.amdhsa_user_sgpr_dispatch_ptr 1
		.amdhsa_user_sgpr_queue_ptr 0
		.amdhsa_user_sgpr_kernarg_segment_ptr 1
		.amdhsa_user_sgpr_dispatch_id 0
		.amdhsa_user_sgpr_flat_scratch_init 0
		.amdhsa_user_sgpr_kernarg_preload_length 0
		.amdhsa_user_sgpr_kernarg_preload_offset 0
		.amdhsa_user_sgpr_private_segment_size 0
		.amdhsa_uses_dynamic_stack 0
		.amdhsa_system_sgpr_private_segment_wavefront_offset 0
		.amdhsa_system_sgpr_workgroup_id_x 1
		.amdhsa_system_sgpr_workgroup_id_y 0
		.amdhsa_system_sgpr_workgroup_id_z 0
		.amdhsa_system_sgpr_workgroup_info 0
		.amdhsa_system_vgpr_workitem_id 2
		.amdhsa_next_free_vgpr 24
		.amdhsa_next_free_sgpr 21
		.amdhsa_accum_offset 24
		.amdhsa_reserve_vcc 1
		.amdhsa_reserve_flat_scratch 0
		.amdhsa_float_round_mode_32 0
		.amdhsa_float_round_mode_16_64 0
		.amdhsa_float_denorm_mode_32 3
		.amdhsa_float_denorm_mode_16_64 3
		.amdhsa_dx10_clamp 1
		.amdhsa_ieee_mode 1
		.amdhsa_fp16_overflow 0
		.amdhsa_tg_split 0
		.amdhsa_exception_fp_ieee_invalid_op 0
		.amdhsa_exception_fp_denorm_src 0
		.amdhsa_exception_fp_ieee_div_zero 0
		.amdhsa_exception_fp_ieee_overflow 0
		.amdhsa_exception_fp_ieee_underflow 0
		.amdhsa_exception_fp_ieee_inexact 0
		.amdhsa_exception_int_div_zero 0
	.end_amdhsa_kernel
	.section	.text._ZN4vllm3moe17topkGatingSoftmaxILi4ELi16ELi4ELi16ELi32EjEEvPKfPKbPfiPT4_Piiii,"axG",@progbits,_ZN4vllm3moe17topkGatingSoftmaxILi4ELi16ELi4ELi16ELi32EjEEvPKfPKbPfiPT4_Piiii,comdat
.Lfunc_end33:
	.size	_ZN4vllm3moe17topkGatingSoftmaxILi4ELi16ELi4ELi16ELi32EjEEvPKfPKbPfiPT4_Piiii, .Lfunc_end33-_ZN4vllm3moe17topkGatingSoftmaxILi4ELi16ELi4ELi16ELi32EjEEvPKfPKbPfiPT4_Piiii
                                        ; -- End function
	.section	.AMDGPU.csdata,"",@progbits
; Kernel info:
; codeLenInByte = 1504
; NumSgprs: 25
; NumVgprs: 24
; NumAgprs: 0
; TotalNumVgprs: 24
; ScratchSize: 0
; MemoryBound: 0
; FloatMode: 240
; IeeeMode: 1
; LDSByteSize: 2048 bytes/workgroup (compile time only)
; SGPRBlocks: 3
; VGPRBlocks: 2
; NumSGPRsForWavesPerEU: 25
; NumVGPRsForWavesPerEU: 24
; AccumOffset: 24
; Occupancy: 8
; WaveLimiterHint : 0
; COMPUTE_PGM_RSRC2:SCRATCH_EN: 0
; COMPUTE_PGM_RSRC2:USER_SGPR: 8
; COMPUTE_PGM_RSRC2:TRAP_HANDLER: 0
; COMPUTE_PGM_RSRC2:TGID_X_EN: 1
; COMPUTE_PGM_RSRC2:TGID_Y_EN: 0
; COMPUTE_PGM_RSRC2:TGID_Z_EN: 0
; COMPUTE_PGM_RSRC2:TIDIG_COMP_CNT: 2
; COMPUTE_PGM_RSRC3_GFX90A:ACCUM_OFFSET: 5
; COMPUTE_PGM_RSRC3_GFX90A:TG_SPLIT: 0
	.section	.text._ZN4vllm3moe17topkGatingSoftmaxILi4ELi32ELi4ELi16ELi64EjEEvPKfPKbPfiPT4_Piiii,"axG",@progbits,_ZN4vllm3moe17topkGatingSoftmaxILi4ELi32ELi4ELi16ELi64EjEEvPKfPKbPfiPT4_Piiii,comdat
	.protected	_ZN4vllm3moe17topkGatingSoftmaxILi4ELi32ELi4ELi16ELi64EjEEvPKfPKbPfiPT4_Piiii ; -- Begin function _ZN4vllm3moe17topkGatingSoftmaxILi4ELi32ELi4ELi16ELi64EjEEvPKfPKbPfiPT4_Piiii
	.globl	_ZN4vllm3moe17topkGatingSoftmaxILi4ELi32ELi4ELi16ELi64EjEEvPKfPKbPfiPT4_Piiii
	.p2align	8
	.type	_ZN4vllm3moe17topkGatingSoftmaxILi4ELi32ELi4ELi16ELi64EjEEvPKfPKbPfiPT4_Piiii,@function
_ZN4vllm3moe17topkGatingSoftmaxILi4ELi32ELi4ELi16ELi64EjEEvPKfPKbPfiPT4_Piiii: ; @_ZN4vllm3moe17topkGatingSoftmaxILi4ELi32ELi4ELi16ELi64EjEEvPKfPKbPfiPT4_Piiii
; %bb.0:
	s_load_dword s20, s[6:7], 0x18
	v_and_b32_e32 v6, 0x3ff, v0
	v_bfe_u32 v7, v0, 10, 10
	s_lshl_b32 s0, s8, 5
	v_lshlrev_b32_e32 v1, 3, v7
	v_lshrrev_b32_e32 v2, 3, v6
	v_add3_u32 v1, s0, v1, v2
	s_waitcnt lgkmcnt(0)
	v_cmp_gt_i32_e32 vcc, s20, v1
	s_and_saveexec_b64 s[0:1], vcc
	s_cbranch_execz .LBB34_23
; %bb.1:
	s_load_dwordx4 s[0:3], s[6:7], 0x0
	s_load_dwordx2 s[12:13], s[6:7], 0x10
	s_waitcnt lgkmcnt(0)
	s_cmp_eq_u64 s[2:3], 0
	s_cbranch_scc1 .LBB34_3
; %bb.2:
	v_ashrrev_i32_e32 v3, 31, v1
	v_mov_b32_e32 v4, s3
	v_add_co_u32_e32 v2, vcc, s2, v1
	v_addc_co_u32_e32 v3, vcc, v4, v3, vcc
	global_load_ubyte v2, v[2:3], off
	s_waitcnt vmcnt(0)
	v_and_b32_e32 v2, 1, v2
	v_cmp_eq_u32_e32 vcc, 1, v2
	s_xor_b64 s[2:3], vcc, -1
	s_orn2_b64 s[14:15], s[2:3], exec
	s_branch .LBB34_4
.LBB34_3:
	s_mov_b64 s[14:15], -1
.LBB34_4:
	v_lshlrev_b32_e32 v2, 5, v1
	v_ashrrev_i32_e32 v3, 31, v2
	v_lshlrev_b64 v[2:3], 2, v[2:3]
	v_mov_b32_e32 v4, s1
	v_add_co_u32_e32 v5, vcc, s0, v2
	v_and_b32_e32 v2, 7, v6
	v_addc_co_u32_e32 v3, vcc, v4, v3, vcc
	v_lshlrev_b32_e32 v4, 4, v2
	v_add_co_u32_e32 v4, vcc, v5, v4
	v_addc_co_u32_e32 v5, vcc, 0, v3, vcc
	global_load_dwordx4 v[8:11], v[4:5], off
	v_mbcnt_lo_u32_b32 v3, -1, 0
	v_mbcnt_hi_u32_b32 v5, -1, v3
	v_and_b32_e32 v3, 0x78, v5
	v_xor_b32_e32 v4, 4, v5
	v_add_u32_e32 v12, 8, v3
	v_cmp_lt_i32_e32 vcc, v4, v12
	v_cndmask_b32_e32 v3, v5, v4, vcc
	v_lshlrev_b32_e32 v3, 2, v3
	v_xor_b32_e32 v15, 1, v5
	s_mov_b32 s0, 0x3fb8aa3b
	s_mov_b32 s1, 0xc2ce8ed0
	;; [unrolled: 1-line block ×3, first 2 shown]
	v_bfe_u32 v0, v0, 20, 10
	s_waitcnt vmcnt(0)
	v_max_f32_e32 v4, v9, v9
	v_max_f32_e32 v13, v8, v8
	;; [unrolled: 1-line block ×3, first 2 shown]
	v_max3_f32 v13, v4, v10, v11
	ds_bpermute_b32 v14, v3, v13
	v_xor_b32_e32 v4, 2, v5
	v_cmp_lt_i32_e32 vcc, v4, v12
	v_cndmask_b32_e32 v4, v5, v4, vcc
	v_lshlrev_b32_e32 v4, 2, v4
	s_waitcnt lgkmcnt(0)
	v_max_f32_e32 v14, v14, v14
	v_max_f32_e32 v13, v13, v14
	ds_bpermute_b32 v14, v4, v13
	v_cmp_lt_i32_e32 vcc, v15, v12
	v_cndmask_b32_e32 v5, v5, v15, vcc
	v_lshlrev_b32_e32 v5, 2, v5
	s_waitcnt lgkmcnt(0)
	v_max_f32_e32 v12, v14, v14
	v_max_f32_e32 v12, v13, v12
	ds_bpermute_b32 v13, v5, v12
	v_mov_b32_e32 v14, 0x7f800000
	s_waitcnt lgkmcnt(0)
	v_max_f32_e32 v13, v13, v13
	v_max_f32_e32 v12, v12, v13
	v_pk_add_f32 v[10:11], v[10:11], v[12:13] op_sel_hi:[1,0] neg_lo:[0,1] neg_hi:[0,1]
	v_pk_add_f32 v[8:9], v[8:9], v[12:13] op_sel_hi:[1,0] neg_lo:[0,1] neg_hi:[0,1]
	v_mul_f32_e32 v12, 0x3fb8aa3b, v11
	v_mul_f32_e32 v13, 0x3fb8aa3b, v10
	v_fma_f32 v17, v11, s0, -v12
	v_rndne_f32_e32 v18, v12
	v_mul_f32_e32 v15, 0x3fb8aa3b, v9
	v_fma_f32 v19, v10, s0, -v13
	v_rndne_f32_e32 v20, v13
	v_fmac_f32_e32 v17, 0x32a5705f, v11
	v_sub_f32_e32 v12, v12, v18
	v_mul_f32_e32 v16, 0x3fb8aa3b, v8
	v_fma_f32 v21, v9, s0, -v15
	v_rndne_f32_e32 v22, v15
	v_fmac_f32_e32 v19, 0x32a5705f, v10
	v_sub_f32_e32 v13, v13, v20
	v_add_f32_e32 v12, v12, v17
	v_fma_f32 v23, v8, s0, -v16
	v_rndne_f32_e32 v24, v16
	v_cvt_i32_f32_e32 v18, v18
	v_fmac_f32_e32 v21, 0x32a5705f, v9
	v_sub_f32_e32 v15, v15, v22
	v_add_f32_e32 v13, v13, v19
	v_exp_f32_e32 v12, v12
	v_cvt_i32_f32_e32 v20, v20
	v_fmac_f32_e32 v23, 0x32a5705f, v8
	v_sub_f32_e32 v16, v16, v24
	v_add_f32_e32 v15, v15, v21
	v_exp_f32_e32 v13, v13
	v_cvt_i32_f32_e32 v22, v22
	v_add_f32_e32 v16, v16, v23
	v_exp_f32_e32 v15, v15
	v_cvt_i32_f32_e32 v24, v24
	v_exp_f32_e32 v16, v16
	v_ldexp_f32 v12, v12, v18
	v_cmp_ngt_f32_e32 vcc, s1, v11
	v_ldexp_f32 v13, v13, v20
	v_cndmask_b32_e32 v12, 0, v12, vcc
	v_cmp_ngt_f32_e32 vcc, s1, v10
	v_ldexp_f32 v15, v15, v22
	v_cndmask_b32_e32 v13, 0, v13, vcc
	;; [unrolled: 3-line block ×3, first 2 shown]
	v_cmp_ngt_f32_e32 vcc, s1, v8
	v_cndmask_b32_e32 v16, 0, v16, vcc
	v_cmp_nlt_f32_e32 vcc, s2, v11
	v_cndmask_b32_e32 v11, v14, v12, vcc
	v_cmp_nlt_f32_e32 vcc, s2, v10
	;; [unrolled: 2-line block ×4, first 2 shown]
	v_cndmask_b32_e32 v8, v14, v16, vcc
	v_add_f32_e32 v12, v8, v9
	v_add_f32_e32 v12, v12, v10
	;; [unrolled: 1-line block ×3, first 2 shown]
	ds_bpermute_b32 v13, v3, v12
	s_load_dwordx4 s[8:11], s[6:7], 0x30
	s_load_dwordx2 s[0:1], s[4:5], 0x4
	s_waitcnt lgkmcnt(0)
	s_mov_b32 s11, 0
	v_add_f32_e32 v12, v12, v13
	ds_bpermute_b32 v13, v4, v12
	s_lshr_b32 s0, s0, 16
	s_mul_i32 s0, s0, s1
	v_mul_lo_u32 v6, s0, v6
	v_mad_u32_u24 v6, v7, s1, v6
	s_waitcnt lgkmcnt(0)
	v_add_f32_e32 v12, v12, v13
	ds_bpermute_b32 v13, v5, v12
	v_add_lshl_u32 v0, v6, v0, 4
	s_cmp_lt_i32 s8, 1
	s_waitcnt lgkmcnt(0)
	v_add_f32_e32 v7, v12, v13
	v_div_scale_f32 v12, s[0:1], v7, v7, 1.0
	v_rcp_f32_e32 v13, v12
	v_div_scale_f32 v6, vcc, 1.0, v7, 1.0
	v_fma_f32 v14, -v12, v13, 1.0
	v_fmac_f32_e32 v13, v14, v13
	v_mul_f32_e32 v14, v6, v13
	v_fma_f32 v15, -v12, v14, v6
	v_fmac_f32_e32 v14, v15, v13
	v_fma_f32 v6, -v12, v14, v6
	v_div_fmas_f32 v6, v6, v13, v14
	v_div_fixup_f32 v12, v6, v7, 1.0
	v_pk_mul_f32 v[6:7], v[12:13], v[8:9] op_sel_hi:[0,1]
	v_pk_mul_f32 v[8:9], v[12:13], v[10:11] op_sel_hi:[0,1]
	ds_write_b128 v0, v[6:9]
	s_cbranch_scc1 .LBB34_23
; %bb.5:
	s_load_dwordx4 s[4:7], s[6:7], 0x20
	v_lshlrev_b32_e32 v6, 2, v2
	v_cmp_eq_u32_e32 vcc, 0, v2
	v_mul_lo_u32 v7, v1, s8
	v_mov_b32_e32 v8, 0xc61c4000
	s_branch .LBB34_7
.LBB34_6:                               ;   in Loop: Header=BB34_7 Depth=1
	s_or_b64 exec, exec, s[0:1]
	s_cmp_lg_u32 s8, s11
	v_add_u32_e32 v1, s20, v1
	s_cbranch_scc0 .LBB34_23
.LBB34_7:                               ; =>This Inner Loop Header: Depth=1
	ds_read_b128 v[10:13], v0
	s_waitcnt lgkmcnt(0)
	v_cmp_gt_f32_e64 s[0:1], v11, v10
	v_cndmask_b32_e64 v9, v10, v11, s[0:1]
	v_cndmask_b32_e64 v10, 0, 1, s[0:1]
	v_cmp_gt_f32_e64 s[0:1], v12, v9
	v_cndmask_b32_e64 v9, v9, v12, s[0:1]
	v_cndmask_b32_e64 v11, v10, 2, s[0:1]
	;; [unrolled: 3-line block ×3, first 2 shown]
	ds_bpermute_b32 v11, v3, v10
	v_or_b32_e32 v9, v6, v9
	ds_bpermute_b32 v12, v3, v9
	s_waitcnt lgkmcnt(1)
	v_cmp_lt_f32_e64 s[16:17], v10, v11
	v_cmp_nlt_f32_e64 s[0:1], v10, v11
	s_and_saveexec_b64 s[18:19], s[0:1]
	s_cbranch_execz .LBB34_9
; %bb.8:                                ;   in Loop: Header=BB34_7 Depth=1
	v_cmp_eq_f32_e64 s[0:1], v10, v11
	s_waitcnt lgkmcnt(0)
	v_cmp_lt_i32_e64 s[2:3], v12, v9
	s_and_b64 s[0:1], s[0:1], s[2:3]
	s_andn2_b64 s[2:3], s[16:17], exec
	s_and_b64 s[0:1], s[0:1], exec
	s_or_b64 s[16:17], s[2:3], s[0:1]
.LBB34_9:                               ;   in Loop: Header=BB34_7 Depth=1
	s_or_b64 exec, exec, s[18:19]
	s_and_saveexec_b64 s[0:1], s[16:17]
	s_cbranch_execz .LBB34_11
; %bb.10:                               ;   in Loop: Header=BB34_7 Depth=1
	v_mov_b32_e32 v10, v11
	s_waitcnt lgkmcnt(0)
	v_mov_b32_e32 v9, v12
.LBB34_11:                              ;   in Loop: Header=BB34_7 Depth=1
	s_or_b64 exec, exec, s[0:1]
	s_waitcnt lgkmcnt(0)
	ds_bpermute_b32 v12, v4, v10
	ds_bpermute_b32 v11, v4, v9
	s_waitcnt lgkmcnt(1)
	v_cmp_lt_f32_e64 s[16:17], v10, v12
	v_cmp_nlt_f32_e64 s[0:1], v10, v12
	s_and_saveexec_b64 s[18:19], s[0:1]
	s_cbranch_execz .LBB34_13
; %bb.12:                               ;   in Loop: Header=BB34_7 Depth=1
	v_cmp_eq_f32_e64 s[0:1], v10, v12
	s_waitcnt lgkmcnt(0)
	v_cmp_lt_i32_e64 s[2:3], v11, v9
	s_and_b64 s[0:1], s[0:1], s[2:3]
	s_andn2_b64 s[2:3], s[16:17], exec
	s_and_b64 s[0:1], s[0:1], exec
	s_or_b64 s[16:17], s[2:3], s[0:1]
.LBB34_13:                              ;   in Loop: Header=BB34_7 Depth=1
	s_or_b64 exec, exec, s[18:19]
	s_and_saveexec_b64 s[0:1], s[16:17]
	s_cbranch_execz .LBB34_15
; %bb.14:                               ;   in Loop: Header=BB34_7 Depth=1
	v_mov_b32_e32 v10, v12
	s_waitcnt lgkmcnt(0)
	v_mov_b32_e32 v9, v11
.LBB34_15:                              ;   in Loop: Header=BB34_7 Depth=1
	s_or_b64 exec, exec, s[0:1]
	s_waitcnt lgkmcnt(0)
	ds_bpermute_b32 v11, v5, v10
	ds_bpermute_b32 v12, v5, v9
	s_waitcnt lgkmcnt(1)
	v_cmp_lt_f32_e64 s[16:17], v10, v11
	v_cmp_nlt_f32_e64 s[0:1], v10, v11
	s_and_saveexec_b64 s[18:19], s[0:1]
	s_cbranch_execnz .LBB34_21
; %bb.16:                               ;   in Loop: Header=BB34_7 Depth=1
	s_or_b64 exec, exec, s[18:19]
	s_and_saveexec_b64 s[0:1], s[16:17]
	s_cbranch_execnz .LBB34_22
.LBB34_17:                              ;   in Loop: Header=BB34_7 Depth=1
	s_or_b64 exec, exec, s[0:1]
	s_and_saveexec_b64 s[16:17], vcc
	s_cbranch_execz .LBB34_19
.LBB34_18:                              ;   in Loop: Header=BB34_7 Depth=1
	s_waitcnt lgkmcnt(0)
	v_add_u32_e32 v12, s11, v7
	v_ashrrev_i32_e32 v13, 31, v12
	v_cmp_le_i32_e64 s[0:1], s9, v9
	v_cmp_gt_i32_e64 s[2:3], s10, v9
	v_lshlrev_b64 v[12:13], 2, v[12:13]
	s_and_b64 s[2:3], s[0:1], s[2:3]
	v_mov_b32_e32 v11, s13
	v_add_co_u32_e64 v14, s[0:1], s12, v12
	v_addc_co_u32_e64 v15, s[0:1], v11, v13, s[0:1]
	global_store_dword v[14:15], v10, off
	v_subrev_u32_e32 v10, s9, v9
	s_and_b64 s[0:1], s[14:15], s[2:3]
	v_cndmask_b32_e64 v14, 32, v10, s[0:1]
	v_mov_b32_e32 v11, s5
	v_add_co_u32_e64 v10, s[0:1], s4, v12
	v_addc_co_u32_e64 v11, s[0:1], v11, v13, s[0:1]
	global_store_dword v[10:11], v14, off
	v_mov_b32_e32 v11, s7
	v_add_co_u32_e64 v10, s[0:1], s6, v12
	v_addc_co_u32_e64 v11, s[0:1], v11, v13, s[0:1]
	global_store_dword v[10:11], v1, off
.LBB34_19:                              ;   in Loop: Header=BB34_7 Depth=1
	s_or_b64 exec, exec, s[16:17]
	v_ashrrev_i32_e32 v11, 31, v9
	v_lshrrev_b32_e32 v10, 30, v11
	v_add_u32_e32 v10, v9, v10
	v_ashrrev_i32_e32 v10, 2, v10
	s_waitcnt lgkmcnt(0)
	v_lshrrev_b32_e32 v12, 29, v10
	v_add_u32_e32 v12, v10, v12
	s_add_i32 s11, s11, 1
	v_and_b32_e32 v12, -8, v12
	s_cmp_lt_i32 s11, s8
	v_sub_u32_e32 v12, v10, v12
	s_cselect_b64 s[2:3], -1, 0
	v_cmp_eq_u32_e64 s[0:1], v2, v12
	s_and_b64 s[2:3], s[2:3], s[0:1]
	s_and_saveexec_b64 s[0:1], s[2:3]
	s_cbranch_execz .LBB34_6
; %bb.20:                               ;   in Loop: Header=BB34_7 Depth=1
	v_lshrrev_b32_e32 v11, 27, v11
	v_add_u32_e32 v11, v9, v11
	v_lshlrev_b32_e32 v10, 2, v10
	v_ashrrev_i32_e32 v11, 5, v11
	v_sub_u32_e32 v9, v9, v10
	v_lshl_add_u32 v9, v11, 2, v9
	v_lshl_add_u32 v9, v9, 2, v0
	ds_write_b32 v9, v8
	s_branch .LBB34_6
.LBB34_21:                              ;   in Loop: Header=BB34_7 Depth=1
	v_cmp_eq_f32_e64 s[0:1], v10, v11
	s_waitcnt lgkmcnt(0)
	v_cmp_lt_i32_e64 s[2:3], v12, v9
	s_and_b64 s[0:1], s[0:1], s[2:3]
	s_andn2_b64 s[2:3], s[16:17], exec
	s_and_b64 s[0:1], s[0:1], exec
	s_or_b64 s[16:17], s[2:3], s[0:1]
	s_or_b64 exec, exec, s[18:19]
	s_and_saveexec_b64 s[0:1], s[16:17]
	s_cbranch_execz .LBB34_17
.LBB34_22:                              ;   in Loop: Header=BB34_7 Depth=1
	v_mov_b32_e32 v10, v11
	s_waitcnt lgkmcnt(0)
	v_mov_b32_e32 v9, v12
	s_or_b64 exec, exec, s[0:1]
	s_and_saveexec_b64 s[16:17], vcc
	s_cbranch_execnz .LBB34_18
	s_branch .LBB34_19
.LBB34_23:
	s_endpgm
	.section	.rodata,"a",@progbits
	.p2align	6, 0x0
	.amdhsa_kernel _ZN4vllm3moe17topkGatingSoftmaxILi4ELi32ELi4ELi16ELi64EjEEvPKfPKbPfiPT4_Piiii
		.amdhsa_group_segment_fixed_size 4096
		.amdhsa_private_segment_fixed_size 0
		.amdhsa_kernarg_size 60
		.amdhsa_user_sgpr_count 8
		.amdhsa_user_sgpr_private_segment_buffer 1
		.amdhsa_user_sgpr_dispatch_ptr 1
		.amdhsa_user_sgpr_queue_ptr 0
		.amdhsa_user_sgpr_kernarg_segment_ptr 1
		.amdhsa_user_sgpr_dispatch_id 0
		.amdhsa_user_sgpr_flat_scratch_init 0
		.amdhsa_user_sgpr_kernarg_preload_length 0
		.amdhsa_user_sgpr_kernarg_preload_offset 0
		.amdhsa_user_sgpr_private_segment_size 0
		.amdhsa_uses_dynamic_stack 0
		.amdhsa_system_sgpr_private_segment_wavefront_offset 0
		.amdhsa_system_sgpr_workgroup_id_x 1
		.amdhsa_system_sgpr_workgroup_id_y 0
		.amdhsa_system_sgpr_workgroup_id_z 0
		.amdhsa_system_sgpr_workgroup_info 0
		.amdhsa_system_vgpr_workitem_id 2
		.amdhsa_next_free_vgpr 25
		.amdhsa_next_free_sgpr 21
		.amdhsa_accum_offset 28
		.amdhsa_reserve_vcc 1
		.amdhsa_reserve_flat_scratch 0
		.amdhsa_float_round_mode_32 0
		.amdhsa_float_round_mode_16_64 0
		.amdhsa_float_denorm_mode_32 3
		.amdhsa_float_denorm_mode_16_64 3
		.amdhsa_dx10_clamp 1
		.amdhsa_ieee_mode 1
		.amdhsa_fp16_overflow 0
		.amdhsa_tg_split 0
		.amdhsa_exception_fp_ieee_invalid_op 0
		.amdhsa_exception_fp_denorm_src 0
		.amdhsa_exception_fp_ieee_div_zero 0
		.amdhsa_exception_fp_ieee_overflow 0
		.amdhsa_exception_fp_ieee_underflow 0
		.amdhsa_exception_fp_ieee_inexact 0
		.amdhsa_exception_int_div_zero 0
	.end_amdhsa_kernel
	.section	.text._ZN4vllm3moe17topkGatingSoftmaxILi4ELi32ELi4ELi16ELi64EjEEvPKfPKbPfiPT4_Piiii,"axG",@progbits,_ZN4vllm3moe17topkGatingSoftmaxILi4ELi32ELi4ELi16ELi64EjEEvPKfPKbPfiPT4_Piiii,comdat
.Lfunc_end34:
	.size	_ZN4vllm3moe17topkGatingSoftmaxILi4ELi32ELi4ELi16ELi64EjEEvPKfPKbPfiPT4_Piiii, .Lfunc_end34-_ZN4vllm3moe17topkGatingSoftmaxILi4ELi32ELi4ELi16ELi64EjEEvPKfPKbPfiPT4_Piiii
                                        ; -- End function
	.section	.AMDGPU.csdata,"",@progbits
; Kernel info:
; codeLenInByte = 1668
; NumSgprs: 25
; NumVgprs: 25
; NumAgprs: 0
; TotalNumVgprs: 25
; ScratchSize: 0
; MemoryBound: 0
; FloatMode: 240
; IeeeMode: 1
; LDSByteSize: 4096 bytes/workgroup (compile time only)
; SGPRBlocks: 3
; VGPRBlocks: 3
; NumSGPRsForWavesPerEU: 25
; NumVGPRsForWavesPerEU: 25
; AccumOffset: 28
; Occupancy: 8
; WaveLimiterHint : 0
; COMPUTE_PGM_RSRC2:SCRATCH_EN: 0
; COMPUTE_PGM_RSRC2:USER_SGPR: 8
; COMPUTE_PGM_RSRC2:TRAP_HANDLER: 0
; COMPUTE_PGM_RSRC2:TGID_X_EN: 1
; COMPUTE_PGM_RSRC2:TGID_Y_EN: 0
; COMPUTE_PGM_RSRC2:TGID_Z_EN: 0
; COMPUTE_PGM_RSRC2:TIDIG_COMP_CNT: 2
; COMPUTE_PGM_RSRC3_GFX90A:ACCUM_OFFSET: 6
; COMPUTE_PGM_RSRC3_GFX90A:TG_SPLIT: 0
	.section	.text._ZN4vllm3moe17topkGatingSoftmaxILi4ELi32ELi4ELi16ELi32EjEEvPKfPKbPfiPT4_Piiii,"axG",@progbits,_ZN4vllm3moe17topkGatingSoftmaxILi4ELi32ELi4ELi16ELi32EjEEvPKfPKbPfiPT4_Piiii,comdat
	.protected	_ZN4vllm3moe17topkGatingSoftmaxILi4ELi32ELi4ELi16ELi32EjEEvPKfPKbPfiPT4_Piiii ; -- Begin function _ZN4vllm3moe17topkGatingSoftmaxILi4ELi32ELi4ELi16ELi32EjEEvPKfPKbPfiPT4_Piiii
	.globl	_ZN4vllm3moe17topkGatingSoftmaxILi4ELi32ELi4ELi16ELi32EjEEvPKfPKbPfiPT4_Piiii
	.p2align	8
	.type	_ZN4vllm3moe17topkGatingSoftmaxILi4ELi32ELi4ELi16ELi32EjEEvPKfPKbPfiPT4_Piiii,@function
_ZN4vllm3moe17topkGatingSoftmaxILi4ELi32ELi4ELi16ELi32EjEEvPKfPKbPfiPT4_Piiii: ; @_ZN4vllm3moe17topkGatingSoftmaxILi4ELi32ELi4ELi16ELi32EjEEvPKfPKbPfiPT4_Piiii
; %bb.0:
	s_load_dword s20, s[6:7], 0x18
	v_and_b32_e32 v6, 0x3ff, v0
	v_bfe_u32 v7, v0, 10, 10
	s_lshl_b32 s0, s8, 4
	v_lshlrev_b32_e32 v1, 2, v7
	v_lshrrev_b32_e32 v2, 3, v6
	v_add3_u32 v1, s0, v1, v2
	s_waitcnt lgkmcnt(0)
	v_cmp_gt_i32_e32 vcc, s20, v1
	s_and_saveexec_b64 s[0:1], vcc
	s_cbranch_execz .LBB35_23
; %bb.1:
	s_load_dwordx4 s[0:3], s[6:7], 0x0
	s_load_dwordx2 s[12:13], s[6:7], 0x10
	s_waitcnt lgkmcnt(0)
	s_cmp_eq_u64 s[2:3], 0
	s_cbranch_scc1 .LBB35_3
; %bb.2:
	v_ashrrev_i32_e32 v3, 31, v1
	v_mov_b32_e32 v4, s3
	v_add_co_u32_e32 v2, vcc, s2, v1
	v_addc_co_u32_e32 v3, vcc, v4, v3, vcc
	global_load_ubyte v2, v[2:3], off
	s_waitcnt vmcnt(0)
	v_and_b32_e32 v2, 1, v2
	v_cmp_eq_u32_e32 vcc, 1, v2
	s_xor_b64 s[2:3], vcc, -1
	s_orn2_b64 s[14:15], s[2:3], exec
	s_branch .LBB35_4
.LBB35_3:
	s_mov_b64 s[14:15], -1
.LBB35_4:
	v_lshlrev_b32_e32 v2, 5, v1
	v_ashrrev_i32_e32 v3, 31, v2
	v_lshlrev_b64 v[2:3], 2, v[2:3]
	v_mov_b32_e32 v4, s1
	v_add_co_u32_e32 v5, vcc, s0, v2
	v_and_b32_e32 v2, 7, v6
	v_addc_co_u32_e32 v3, vcc, v4, v3, vcc
	v_lshlrev_b32_e32 v4, 4, v2
	v_add_co_u32_e32 v4, vcc, v5, v4
	v_addc_co_u32_e32 v5, vcc, 0, v3, vcc
	global_load_dwordx4 v[8:11], v[4:5], off
	v_mbcnt_lo_u32_b32 v3, -1, 0
	v_mbcnt_hi_u32_b32 v5, -1, v3
	v_and_b32_e32 v3, 0x78, v5
	v_xor_b32_e32 v4, 4, v5
	v_add_u32_e32 v12, 8, v3
	v_cmp_lt_i32_e32 vcc, v4, v12
	v_cndmask_b32_e32 v3, v5, v4, vcc
	v_lshlrev_b32_e32 v3, 2, v3
	v_xor_b32_e32 v15, 1, v5
	s_mov_b32 s0, 0x3fb8aa3b
	s_mov_b32 s1, 0xc2ce8ed0
	;; [unrolled: 1-line block ×3, first 2 shown]
	v_bfe_u32 v0, v0, 20, 10
	s_waitcnt vmcnt(0)
	v_max_f32_e32 v4, v9, v9
	v_max_f32_e32 v13, v8, v8
	;; [unrolled: 1-line block ×3, first 2 shown]
	v_max3_f32 v13, v4, v10, v11
	ds_bpermute_b32 v14, v3, v13
	v_xor_b32_e32 v4, 2, v5
	v_cmp_lt_i32_e32 vcc, v4, v12
	v_cndmask_b32_e32 v4, v5, v4, vcc
	v_lshlrev_b32_e32 v4, 2, v4
	s_waitcnt lgkmcnt(0)
	v_max_f32_e32 v14, v14, v14
	v_max_f32_e32 v13, v13, v14
	ds_bpermute_b32 v14, v4, v13
	v_cmp_lt_i32_e32 vcc, v15, v12
	v_cndmask_b32_e32 v5, v5, v15, vcc
	v_lshlrev_b32_e32 v5, 2, v5
	s_waitcnt lgkmcnt(0)
	v_max_f32_e32 v12, v14, v14
	v_max_f32_e32 v12, v13, v12
	ds_bpermute_b32 v13, v5, v12
	v_mov_b32_e32 v14, 0x7f800000
	s_waitcnt lgkmcnt(0)
	v_max_f32_e32 v13, v13, v13
	v_max_f32_e32 v12, v12, v13
	v_pk_add_f32 v[10:11], v[10:11], v[12:13] op_sel_hi:[1,0] neg_lo:[0,1] neg_hi:[0,1]
	v_pk_add_f32 v[8:9], v[8:9], v[12:13] op_sel_hi:[1,0] neg_lo:[0,1] neg_hi:[0,1]
	v_mul_f32_e32 v12, 0x3fb8aa3b, v11
	v_mul_f32_e32 v13, 0x3fb8aa3b, v10
	v_fma_f32 v17, v11, s0, -v12
	v_rndne_f32_e32 v18, v12
	v_mul_f32_e32 v15, 0x3fb8aa3b, v9
	v_fma_f32 v19, v10, s0, -v13
	v_rndne_f32_e32 v20, v13
	v_fmac_f32_e32 v17, 0x32a5705f, v11
	v_sub_f32_e32 v12, v12, v18
	v_mul_f32_e32 v16, 0x3fb8aa3b, v8
	v_fma_f32 v21, v9, s0, -v15
	v_rndne_f32_e32 v22, v15
	v_fmac_f32_e32 v19, 0x32a5705f, v10
	v_sub_f32_e32 v13, v13, v20
	v_add_f32_e32 v12, v12, v17
	v_fma_f32 v23, v8, s0, -v16
	v_rndne_f32_e32 v24, v16
	v_cvt_i32_f32_e32 v18, v18
	v_fmac_f32_e32 v21, 0x32a5705f, v9
	v_sub_f32_e32 v15, v15, v22
	v_add_f32_e32 v13, v13, v19
	v_exp_f32_e32 v12, v12
	v_cvt_i32_f32_e32 v20, v20
	v_fmac_f32_e32 v23, 0x32a5705f, v8
	v_sub_f32_e32 v16, v16, v24
	v_add_f32_e32 v15, v15, v21
	v_exp_f32_e32 v13, v13
	v_cvt_i32_f32_e32 v22, v22
	v_add_f32_e32 v16, v16, v23
	v_exp_f32_e32 v15, v15
	v_cvt_i32_f32_e32 v24, v24
	v_exp_f32_e32 v16, v16
	v_ldexp_f32 v12, v12, v18
	v_cmp_ngt_f32_e32 vcc, s1, v11
	v_ldexp_f32 v13, v13, v20
	v_cndmask_b32_e32 v12, 0, v12, vcc
	v_cmp_ngt_f32_e32 vcc, s1, v10
	v_ldexp_f32 v15, v15, v22
	v_cndmask_b32_e32 v13, 0, v13, vcc
	;; [unrolled: 3-line block ×3, first 2 shown]
	v_cmp_ngt_f32_e32 vcc, s1, v8
	v_cndmask_b32_e32 v16, 0, v16, vcc
	v_cmp_nlt_f32_e32 vcc, s2, v11
	v_cndmask_b32_e32 v11, v14, v12, vcc
	v_cmp_nlt_f32_e32 vcc, s2, v10
	;; [unrolled: 2-line block ×4, first 2 shown]
	v_cndmask_b32_e32 v8, v14, v16, vcc
	v_add_f32_e32 v12, v8, v9
	v_add_f32_e32 v12, v12, v10
	;; [unrolled: 1-line block ×3, first 2 shown]
	ds_bpermute_b32 v13, v3, v12
	s_load_dwordx4 s[8:11], s[6:7], 0x30
	s_load_dwordx2 s[0:1], s[4:5], 0x4
	s_waitcnt lgkmcnt(0)
	s_mov_b32 s11, 0
	v_add_f32_e32 v12, v12, v13
	ds_bpermute_b32 v13, v4, v12
	s_lshr_b32 s0, s0, 16
	v_mul_u32_u24_e32 v7, s1, v7
	s_mul_i32 s0, s0, s1
	v_mad_u32_u24 v6, s0, v6, v7
	s_waitcnt lgkmcnt(0)
	v_add_f32_e32 v12, v12, v13
	ds_bpermute_b32 v13, v5, v12
	v_add_lshl_u32 v0, v6, v0, 4
	s_cmp_lt_i32 s8, 1
	s_waitcnt lgkmcnt(0)
	v_add_f32_e32 v7, v12, v13
	v_div_scale_f32 v12, s[0:1], v7, v7, 1.0
	v_rcp_f32_e32 v13, v12
	v_div_scale_f32 v6, vcc, 1.0, v7, 1.0
	v_fma_f32 v14, -v12, v13, 1.0
	v_fmac_f32_e32 v13, v14, v13
	v_mul_f32_e32 v14, v6, v13
	v_fma_f32 v15, -v12, v14, v6
	v_fmac_f32_e32 v14, v15, v13
	v_fma_f32 v6, -v12, v14, v6
	v_div_fmas_f32 v6, v6, v13, v14
	v_div_fixup_f32 v12, v6, v7, 1.0
	v_pk_mul_f32 v[6:7], v[12:13], v[8:9] op_sel_hi:[0,1]
	v_pk_mul_f32 v[8:9], v[12:13], v[10:11] op_sel_hi:[0,1]
	ds_write_b128 v0, v[6:9]
	s_cbranch_scc1 .LBB35_23
; %bb.5:
	s_load_dwordx4 s[4:7], s[6:7], 0x20
	v_lshlrev_b32_e32 v6, 2, v2
	v_cmp_eq_u32_e32 vcc, 0, v2
	v_mul_lo_u32 v7, v1, s8
	v_mov_b32_e32 v8, 0xc61c4000
	s_branch .LBB35_7
.LBB35_6:                               ;   in Loop: Header=BB35_7 Depth=1
	s_or_b64 exec, exec, s[0:1]
	s_cmp_lg_u32 s8, s11
	v_add_u32_e32 v1, s20, v1
	s_cbranch_scc0 .LBB35_23
.LBB35_7:                               ; =>This Inner Loop Header: Depth=1
	ds_read_b128 v[10:13], v0
	s_waitcnt lgkmcnt(0)
	v_cmp_gt_f32_e64 s[0:1], v11, v10
	v_cndmask_b32_e64 v9, v10, v11, s[0:1]
	v_cndmask_b32_e64 v10, 0, 1, s[0:1]
	v_cmp_gt_f32_e64 s[0:1], v12, v9
	v_cndmask_b32_e64 v9, v9, v12, s[0:1]
	v_cndmask_b32_e64 v11, v10, 2, s[0:1]
	;; [unrolled: 3-line block ×3, first 2 shown]
	ds_bpermute_b32 v11, v3, v10
	v_or_b32_e32 v9, v6, v9
	ds_bpermute_b32 v12, v3, v9
	s_waitcnt lgkmcnt(1)
	v_cmp_lt_f32_e64 s[16:17], v10, v11
	v_cmp_nlt_f32_e64 s[0:1], v10, v11
	s_and_saveexec_b64 s[18:19], s[0:1]
	s_cbranch_execz .LBB35_9
; %bb.8:                                ;   in Loop: Header=BB35_7 Depth=1
	v_cmp_eq_f32_e64 s[0:1], v10, v11
	s_waitcnt lgkmcnt(0)
	v_cmp_lt_i32_e64 s[2:3], v12, v9
	s_and_b64 s[0:1], s[0:1], s[2:3]
	s_andn2_b64 s[2:3], s[16:17], exec
	s_and_b64 s[0:1], s[0:1], exec
	s_or_b64 s[16:17], s[2:3], s[0:1]
.LBB35_9:                               ;   in Loop: Header=BB35_7 Depth=1
	s_or_b64 exec, exec, s[18:19]
	s_and_saveexec_b64 s[0:1], s[16:17]
	s_cbranch_execz .LBB35_11
; %bb.10:                               ;   in Loop: Header=BB35_7 Depth=1
	v_mov_b32_e32 v10, v11
	s_waitcnt lgkmcnt(0)
	v_mov_b32_e32 v9, v12
.LBB35_11:                              ;   in Loop: Header=BB35_7 Depth=1
	s_or_b64 exec, exec, s[0:1]
	s_waitcnt lgkmcnt(0)
	ds_bpermute_b32 v12, v4, v10
	ds_bpermute_b32 v11, v4, v9
	s_waitcnt lgkmcnt(1)
	v_cmp_lt_f32_e64 s[16:17], v10, v12
	v_cmp_nlt_f32_e64 s[0:1], v10, v12
	s_and_saveexec_b64 s[18:19], s[0:1]
	s_cbranch_execz .LBB35_13
; %bb.12:                               ;   in Loop: Header=BB35_7 Depth=1
	v_cmp_eq_f32_e64 s[0:1], v10, v12
	s_waitcnt lgkmcnt(0)
	v_cmp_lt_i32_e64 s[2:3], v11, v9
	s_and_b64 s[0:1], s[0:1], s[2:3]
	s_andn2_b64 s[2:3], s[16:17], exec
	s_and_b64 s[0:1], s[0:1], exec
	s_or_b64 s[16:17], s[2:3], s[0:1]
.LBB35_13:                              ;   in Loop: Header=BB35_7 Depth=1
	s_or_b64 exec, exec, s[18:19]
	s_and_saveexec_b64 s[0:1], s[16:17]
	s_cbranch_execz .LBB35_15
; %bb.14:                               ;   in Loop: Header=BB35_7 Depth=1
	v_mov_b32_e32 v10, v12
	s_waitcnt lgkmcnt(0)
	v_mov_b32_e32 v9, v11
.LBB35_15:                              ;   in Loop: Header=BB35_7 Depth=1
	s_or_b64 exec, exec, s[0:1]
	s_waitcnt lgkmcnt(0)
	ds_bpermute_b32 v11, v5, v10
	ds_bpermute_b32 v12, v5, v9
	s_waitcnt lgkmcnt(1)
	v_cmp_lt_f32_e64 s[16:17], v10, v11
	v_cmp_nlt_f32_e64 s[0:1], v10, v11
	s_and_saveexec_b64 s[18:19], s[0:1]
	s_cbranch_execnz .LBB35_21
; %bb.16:                               ;   in Loop: Header=BB35_7 Depth=1
	s_or_b64 exec, exec, s[18:19]
	s_and_saveexec_b64 s[0:1], s[16:17]
	s_cbranch_execnz .LBB35_22
.LBB35_17:                              ;   in Loop: Header=BB35_7 Depth=1
	s_or_b64 exec, exec, s[0:1]
	s_and_saveexec_b64 s[16:17], vcc
	s_cbranch_execz .LBB35_19
.LBB35_18:                              ;   in Loop: Header=BB35_7 Depth=1
	s_waitcnt lgkmcnt(0)
	v_add_u32_e32 v12, s11, v7
	v_ashrrev_i32_e32 v13, 31, v12
	v_cmp_le_i32_e64 s[0:1], s9, v9
	v_cmp_gt_i32_e64 s[2:3], s10, v9
	v_lshlrev_b64 v[12:13], 2, v[12:13]
	s_and_b64 s[2:3], s[0:1], s[2:3]
	v_mov_b32_e32 v11, s13
	v_add_co_u32_e64 v14, s[0:1], s12, v12
	v_addc_co_u32_e64 v15, s[0:1], v11, v13, s[0:1]
	global_store_dword v[14:15], v10, off
	v_subrev_u32_e32 v10, s9, v9
	s_and_b64 s[0:1], s[14:15], s[2:3]
	v_cndmask_b32_e64 v14, 32, v10, s[0:1]
	v_mov_b32_e32 v11, s5
	v_add_co_u32_e64 v10, s[0:1], s4, v12
	v_addc_co_u32_e64 v11, s[0:1], v11, v13, s[0:1]
	global_store_dword v[10:11], v14, off
	v_mov_b32_e32 v11, s7
	v_add_co_u32_e64 v10, s[0:1], s6, v12
	v_addc_co_u32_e64 v11, s[0:1], v11, v13, s[0:1]
	global_store_dword v[10:11], v1, off
.LBB35_19:                              ;   in Loop: Header=BB35_7 Depth=1
	s_or_b64 exec, exec, s[16:17]
	v_ashrrev_i32_e32 v11, 31, v9
	v_lshrrev_b32_e32 v10, 30, v11
	v_add_u32_e32 v10, v9, v10
	v_ashrrev_i32_e32 v10, 2, v10
	s_waitcnt lgkmcnt(0)
	v_lshrrev_b32_e32 v12, 29, v10
	v_add_u32_e32 v12, v10, v12
	s_add_i32 s11, s11, 1
	v_and_b32_e32 v12, -8, v12
	s_cmp_lt_i32 s11, s8
	v_sub_u32_e32 v12, v10, v12
	s_cselect_b64 s[2:3], -1, 0
	v_cmp_eq_u32_e64 s[0:1], v2, v12
	s_and_b64 s[2:3], s[2:3], s[0:1]
	s_and_saveexec_b64 s[0:1], s[2:3]
	s_cbranch_execz .LBB35_6
; %bb.20:                               ;   in Loop: Header=BB35_7 Depth=1
	v_lshrrev_b32_e32 v11, 27, v11
	v_add_u32_e32 v11, v9, v11
	v_lshlrev_b32_e32 v10, 2, v10
	v_ashrrev_i32_e32 v11, 5, v11
	v_sub_u32_e32 v9, v9, v10
	v_lshl_add_u32 v9, v11, 2, v9
	v_lshl_add_u32 v9, v9, 2, v0
	ds_write_b32 v9, v8
	s_branch .LBB35_6
.LBB35_21:                              ;   in Loop: Header=BB35_7 Depth=1
	v_cmp_eq_f32_e64 s[0:1], v10, v11
	s_waitcnt lgkmcnt(0)
	v_cmp_lt_i32_e64 s[2:3], v12, v9
	s_and_b64 s[0:1], s[0:1], s[2:3]
	s_andn2_b64 s[2:3], s[16:17], exec
	s_and_b64 s[0:1], s[0:1], exec
	s_or_b64 s[16:17], s[2:3], s[0:1]
	s_or_b64 exec, exec, s[18:19]
	s_and_saveexec_b64 s[0:1], s[16:17]
	s_cbranch_execz .LBB35_17
.LBB35_22:                              ;   in Loop: Header=BB35_7 Depth=1
	v_mov_b32_e32 v10, v11
	s_waitcnt lgkmcnt(0)
	v_mov_b32_e32 v9, v12
	s_or_b64 exec, exec, s[0:1]
	s_and_saveexec_b64 s[16:17], vcc
	s_cbranch_execnz .LBB35_18
	s_branch .LBB35_19
.LBB35_23:
	s_endpgm
	.section	.rodata,"a",@progbits
	.p2align	6, 0x0
	.amdhsa_kernel _ZN4vllm3moe17topkGatingSoftmaxILi4ELi32ELi4ELi16ELi32EjEEvPKfPKbPfiPT4_Piiii
		.amdhsa_group_segment_fixed_size 2048
		.amdhsa_private_segment_fixed_size 0
		.amdhsa_kernarg_size 60
		.amdhsa_user_sgpr_count 8
		.amdhsa_user_sgpr_private_segment_buffer 1
		.amdhsa_user_sgpr_dispatch_ptr 1
		.amdhsa_user_sgpr_queue_ptr 0
		.amdhsa_user_sgpr_kernarg_segment_ptr 1
		.amdhsa_user_sgpr_dispatch_id 0
		.amdhsa_user_sgpr_flat_scratch_init 0
		.amdhsa_user_sgpr_kernarg_preload_length 0
		.amdhsa_user_sgpr_kernarg_preload_offset 0
		.amdhsa_user_sgpr_private_segment_size 0
		.amdhsa_uses_dynamic_stack 0
		.amdhsa_system_sgpr_private_segment_wavefront_offset 0
		.amdhsa_system_sgpr_workgroup_id_x 1
		.amdhsa_system_sgpr_workgroup_id_y 0
		.amdhsa_system_sgpr_workgroup_id_z 0
		.amdhsa_system_sgpr_workgroup_info 0
		.amdhsa_system_vgpr_workitem_id 2
		.amdhsa_next_free_vgpr 25
		.amdhsa_next_free_sgpr 21
		.amdhsa_accum_offset 28
		.amdhsa_reserve_vcc 1
		.amdhsa_reserve_flat_scratch 0
		.amdhsa_float_round_mode_32 0
		.amdhsa_float_round_mode_16_64 0
		.amdhsa_float_denorm_mode_32 3
		.amdhsa_float_denorm_mode_16_64 3
		.amdhsa_dx10_clamp 1
		.amdhsa_ieee_mode 1
		.amdhsa_fp16_overflow 0
		.amdhsa_tg_split 0
		.amdhsa_exception_fp_ieee_invalid_op 0
		.amdhsa_exception_fp_denorm_src 0
		.amdhsa_exception_fp_ieee_div_zero 0
		.amdhsa_exception_fp_ieee_overflow 0
		.amdhsa_exception_fp_ieee_underflow 0
		.amdhsa_exception_fp_ieee_inexact 0
		.amdhsa_exception_int_div_zero 0
	.end_amdhsa_kernel
	.section	.text._ZN4vllm3moe17topkGatingSoftmaxILi4ELi32ELi4ELi16ELi32EjEEvPKfPKbPfiPT4_Piiii,"axG",@progbits,_ZN4vllm3moe17topkGatingSoftmaxILi4ELi32ELi4ELi16ELi32EjEEvPKfPKbPfiPT4_Piiii,comdat
.Lfunc_end35:
	.size	_ZN4vllm3moe17topkGatingSoftmaxILi4ELi32ELi4ELi16ELi32EjEEvPKfPKbPfiPT4_Piiii, .Lfunc_end35-_ZN4vllm3moe17topkGatingSoftmaxILi4ELi32ELi4ELi16ELi32EjEEvPKfPKbPfiPT4_Piiii
                                        ; -- End function
	.section	.AMDGPU.csdata,"",@progbits
; Kernel info:
; codeLenInByte = 1664
; NumSgprs: 25
; NumVgprs: 25
; NumAgprs: 0
; TotalNumVgprs: 25
; ScratchSize: 0
; MemoryBound: 0
; FloatMode: 240
; IeeeMode: 1
; LDSByteSize: 2048 bytes/workgroup (compile time only)
; SGPRBlocks: 3
; VGPRBlocks: 3
; NumSGPRsForWavesPerEU: 25
; NumVGPRsForWavesPerEU: 25
; AccumOffset: 28
; Occupancy: 8
; WaveLimiterHint : 0
; COMPUTE_PGM_RSRC2:SCRATCH_EN: 0
; COMPUTE_PGM_RSRC2:USER_SGPR: 8
; COMPUTE_PGM_RSRC2:TRAP_HANDLER: 0
; COMPUTE_PGM_RSRC2:TGID_X_EN: 1
; COMPUTE_PGM_RSRC2:TGID_Y_EN: 0
; COMPUTE_PGM_RSRC2:TGID_Z_EN: 0
; COMPUTE_PGM_RSRC2:TIDIG_COMP_CNT: 2
; COMPUTE_PGM_RSRC3_GFX90A:ACCUM_OFFSET: 6
; COMPUTE_PGM_RSRC3_GFX90A:TG_SPLIT: 0
	.section	.text._ZN4vllm3moe17topkGatingSoftmaxILi4ELi64ELi4ELi16ELi64EjEEvPKfPKbPfiPT4_Piiii,"axG",@progbits,_ZN4vllm3moe17topkGatingSoftmaxILi4ELi64ELi4ELi16ELi64EjEEvPKfPKbPfiPT4_Piiii,comdat
	.protected	_ZN4vllm3moe17topkGatingSoftmaxILi4ELi64ELi4ELi16ELi64EjEEvPKfPKbPfiPT4_Piiii ; -- Begin function _ZN4vllm3moe17topkGatingSoftmaxILi4ELi64ELi4ELi16ELi64EjEEvPKfPKbPfiPT4_Piiii
	.globl	_ZN4vllm3moe17topkGatingSoftmaxILi4ELi64ELi4ELi16ELi64EjEEvPKfPKbPfiPT4_Piiii
	.p2align	8
	.type	_ZN4vllm3moe17topkGatingSoftmaxILi4ELi64ELi4ELi16ELi64EjEEvPKfPKbPfiPT4_Piiii,@function
_ZN4vllm3moe17topkGatingSoftmaxILi4ELi64ELi4ELi16ELi64EjEEvPKfPKbPfiPT4_Piiii: ; @_ZN4vllm3moe17topkGatingSoftmaxILi4ELi64ELi4ELi16ELi64EjEEvPKfPKbPfiPT4_Piiii
; %bb.0:
	s_load_dword s20, s[6:7], 0x18
	v_and_b32_e32 v7, 0x3ff, v0
	v_bfe_u32 v8, v0, 10, 10
	s_lshl_b32 s0, s8, 4
	v_lshlrev_b32_e32 v1, 2, v8
	v_lshrrev_b32_e32 v2, 4, v7
	v_add3_u32 v1, s0, v1, v2
	s_waitcnt lgkmcnt(0)
	v_cmp_gt_i32_e32 vcc, s20, v1
	s_and_saveexec_b64 s[0:1], vcc
	s_cbranch_execz .LBB36_27
; %bb.1:
	s_load_dwordx4 s[0:3], s[6:7], 0x0
	s_load_dwordx2 s[12:13], s[6:7], 0x10
	s_waitcnt lgkmcnt(0)
	s_cmp_eq_u64 s[2:3], 0
	s_cbranch_scc1 .LBB36_3
; %bb.2:
	v_ashrrev_i32_e32 v3, 31, v1
	v_mov_b32_e32 v4, s3
	v_add_co_u32_e32 v2, vcc, s2, v1
	v_addc_co_u32_e32 v3, vcc, v4, v3, vcc
	global_load_ubyte v2, v[2:3], off
	s_waitcnt vmcnt(0)
	v_and_b32_e32 v2, 1, v2
	v_cmp_eq_u32_e32 vcc, 1, v2
	s_xor_b64 s[2:3], vcc, -1
	s_orn2_b64 s[14:15], s[2:3], exec
	s_branch .LBB36_4
.LBB36_3:
	s_mov_b64 s[14:15], -1
.LBB36_4:
	v_lshlrev_b32_e32 v2, 6, v1
	v_ashrrev_i32_e32 v3, 31, v2
	v_lshlrev_b64 v[2:3], 2, v[2:3]
	v_mov_b32_e32 v4, s1
	v_add_co_u32_e32 v5, vcc, s0, v2
	v_and_b32_e32 v2, 15, v7
	v_addc_co_u32_e32 v3, vcc, v4, v3, vcc
	v_lshlrev_b32_e32 v4, 4, v2
	v_add_co_u32_e32 v4, vcc, v5, v4
	v_addc_co_u32_e32 v5, vcc, 0, v3, vcc
	global_load_dwordx4 v[10:13], v[4:5], off
	v_mbcnt_lo_u32_b32 v3, -1, 0
	v_mbcnt_hi_u32_b32 v6, -1, v3
	v_and_b32_e32 v3, 0x70, v6
	v_xor_b32_e32 v4, 8, v6
	v_add_u32_e32 v9, 16, v3
	v_cmp_lt_i32_e32 vcc, v4, v9
	v_cndmask_b32_e32 v3, v6, v4, vcc
	v_lshlrev_b32_e32 v3, 2, v3
	v_xor_b32_e32 v16, 1, v6
	s_mov_b32 s0, 0x3fb8aa3b
	s_mov_b32 s1, 0xc2ce8ed0
	;; [unrolled: 1-line block ×3, first 2 shown]
	v_bfe_u32 v0, v0, 20, 10
	s_waitcnt vmcnt(0)
	v_max_f32_e32 v4, v11, v11
	v_max_f32_e32 v5, v10, v10
	;; [unrolled: 1-line block ×3, first 2 shown]
	v_max3_f32 v5, v4, v12, v13
	ds_bpermute_b32 v14, v3, v5
	v_xor_b32_e32 v4, 4, v6
	v_cmp_lt_i32_e32 vcc, v4, v9
	v_cndmask_b32_e32 v4, v6, v4, vcc
	v_lshlrev_b32_e32 v4, 2, v4
	s_waitcnt lgkmcnt(0)
	v_max_f32_e32 v14, v14, v14
	v_max_f32_e32 v14, v5, v14
	ds_bpermute_b32 v15, v4, v14
	v_xor_b32_e32 v5, 2, v6
	v_cmp_lt_i32_e32 vcc, v5, v9
	v_cndmask_b32_e32 v5, v6, v5, vcc
	v_lshlrev_b32_e32 v5, 2, v5
	s_waitcnt lgkmcnt(0)
	v_max_f32_e32 v15, v15, v15
	v_max_f32_e32 v14, v14, v15
	ds_bpermute_b32 v15, v5, v14
	v_cmp_lt_i32_e32 vcc, v16, v9
	v_cndmask_b32_e32 v6, v6, v16, vcc
	v_lshlrev_b32_e32 v6, 2, v6
	s_waitcnt lgkmcnt(0)
	v_max_f32_e32 v9, v15, v15
	v_max_f32_e32 v9, v14, v9
	ds_bpermute_b32 v14, v6, v9
	v_mov_b32_e32 v15, 0x7f800000
	s_waitcnt lgkmcnt(0)
	v_max_f32_e32 v14, v14, v14
	v_max_f32_e32 v14, v9, v14
	v_pk_add_f32 v[12:13], v[12:13], v[14:15] op_sel_hi:[1,0] neg_lo:[0,1] neg_hi:[0,1]
	v_mul_f32_e32 v9, 0x3fb8aa3b, v13
	v_pk_add_f32 v[10:11], v[10:11], v[14:15] op_sel_hi:[1,0] neg_lo:[0,1] neg_hi:[0,1]
	v_mul_f32_e32 v14, 0x3fb8aa3b, v12
	v_fma_f32 v18, v13, s0, -v9
	v_rndne_f32_e32 v19, v9
	v_mul_f32_e32 v16, 0x3fb8aa3b, v11
	v_fma_f32 v20, v12, s0, -v14
	v_rndne_f32_e32 v21, v14
	v_fmac_f32_e32 v18, 0x32a5705f, v13
	v_sub_f32_e32 v9, v9, v19
	v_mul_f32_e32 v17, 0x3fb8aa3b, v10
	v_fma_f32 v22, v11, s0, -v16
	v_rndne_f32_e32 v23, v16
	v_fmac_f32_e32 v20, 0x32a5705f, v12
	v_sub_f32_e32 v14, v14, v21
	v_add_f32_e32 v9, v9, v18
	v_fma_f32 v24, v10, s0, -v17
	v_rndne_f32_e32 v25, v17
	v_cvt_i32_f32_e32 v19, v19
	v_fmac_f32_e32 v22, 0x32a5705f, v11
	v_sub_f32_e32 v16, v16, v23
	v_add_f32_e32 v14, v14, v20
	v_exp_f32_e32 v9, v9
	v_cvt_i32_f32_e32 v21, v21
	v_fmac_f32_e32 v24, 0x32a5705f, v10
	v_sub_f32_e32 v17, v17, v25
	v_add_f32_e32 v16, v16, v22
	v_exp_f32_e32 v14, v14
	v_cvt_i32_f32_e32 v23, v23
	v_add_f32_e32 v17, v17, v24
	v_exp_f32_e32 v16, v16
	v_cvt_i32_f32_e32 v25, v25
	v_exp_f32_e32 v17, v17
	v_ldexp_f32 v9, v9, v19
	v_cmp_ngt_f32_e32 vcc, s1, v13
	v_ldexp_f32 v14, v14, v21
	v_cndmask_b32_e32 v9, 0, v9, vcc
	v_cmp_ngt_f32_e32 vcc, s1, v12
	v_ldexp_f32 v16, v16, v23
	v_cndmask_b32_e32 v14, 0, v14, vcc
	;; [unrolled: 3-line block ×3, first 2 shown]
	v_cmp_ngt_f32_e32 vcc, s1, v10
	v_cndmask_b32_e32 v17, 0, v17, vcc
	v_cmp_nlt_f32_e32 vcc, s2, v13
	v_cndmask_b32_e32 v13, v15, v9, vcc
	v_cmp_nlt_f32_e32 vcc, s2, v12
	;; [unrolled: 2-line block ×4, first 2 shown]
	v_cndmask_b32_e32 v10, v15, v17, vcc
	v_add_f32_e32 v9, v10, v11
	v_add_f32_e32 v9, v9, v12
	;; [unrolled: 1-line block ×3, first 2 shown]
	ds_bpermute_b32 v14, v3, v9
	s_load_dwordx4 s[8:11], s[6:7], 0x30
	s_load_dwordx2 s[0:1], s[4:5], 0x4
	s_waitcnt lgkmcnt(0)
	s_mov_b32 s11, 0
	v_add_f32_e32 v9, v9, v14
	ds_bpermute_b32 v14, v4, v9
	s_lshr_b32 s0, s0, 16
	s_mul_i32 s0, s0, s1
	v_mul_lo_u32 v7, s0, v7
	v_mad_u32_u24 v7, v8, s1, v7
	s_waitcnt lgkmcnt(0)
	v_add_f32_e32 v9, v9, v14
	ds_bpermute_b32 v14, v5, v9
	v_add_lshl_u32 v0, v7, v0, 4
	s_cmp_lt_i32 s8, 1
	s_waitcnt lgkmcnt(0)
	v_add_f32_e32 v9, v9, v14
	ds_bpermute_b32 v14, v6, v9
	s_waitcnt lgkmcnt(0)
	v_add_f32_e32 v8, v9, v14
	v_div_scale_f32 v9, s[0:1], v8, v8, 1.0
	v_rcp_f32_e32 v14, v9
	v_div_scale_f32 v7, vcc, 1.0, v8, 1.0
	v_fma_f32 v15, -v9, v14, 1.0
	v_fmac_f32_e32 v14, v15, v14
	v_mul_f32_e32 v15, v7, v14
	v_fma_f32 v16, -v9, v15, v7
	v_fmac_f32_e32 v15, v16, v14
	v_fma_f32 v7, -v9, v15, v7
	v_div_fmas_f32 v7, v7, v14, v15
	v_div_fixup_f32 v14, v7, v8, 1.0
	v_pk_mul_f32 v[8:9], v[14:15], v[10:11] op_sel_hi:[0,1]
	v_pk_mul_f32 v[10:11], v[14:15], v[12:13] op_sel_hi:[0,1]
	ds_write_b128 v0, v[8:11]
	s_cbranch_scc1 .LBB36_27
; %bb.5:
	s_load_dwordx4 s[4:7], s[6:7], 0x20
	v_lshlrev_b32_e32 v7, 2, v2
	v_cmp_eq_u32_e32 vcc, 0, v2
	v_mul_lo_u32 v8, v1, s8
	v_mov_b32_e32 v9, 0xc61c4000
	s_branch .LBB36_7
.LBB36_6:                               ;   in Loop: Header=BB36_7 Depth=1
	s_or_b64 exec, exec, s[0:1]
	s_cmp_lg_u32 s8, s11
	v_add_u32_e32 v1, s20, v1
	s_cbranch_scc0 .LBB36_27
.LBB36_7:                               ; =>This Inner Loop Header: Depth=1
	ds_read_b128 v[10:13], v0
	s_waitcnt lgkmcnt(0)
	v_cmp_gt_f32_e64 s[0:1], v11, v10
	v_cndmask_b32_e64 v10, v10, v11, s[0:1]
	v_cndmask_b32_e64 v11, 0, 1, s[0:1]
	v_cmp_gt_f32_e64 s[0:1], v12, v10
	v_cndmask_b32_e64 v10, v10, v12, s[0:1]
	v_cndmask_b32_e64 v12, v11, 2, s[0:1]
	;; [unrolled: 3-line block ×3, first 2 shown]
	ds_bpermute_b32 v12, v3, v11
	v_or_b32_e32 v10, v7, v10
	ds_bpermute_b32 v13, v3, v10
	s_waitcnt lgkmcnt(1)
	v_cmp_lt_f32_e64 s[16:17], v11, v12
	v_cmp_nlt_f32_e64 s[0:1], v11, v12
	s_and_saveexec_b64 s[18:19], s[0:1]
	s_cbranch_execz .LBB36_9
; %bb.8:                                ;   in Loop: Header=BB36_7 Depth=1
	v_cmp_eq_f32_e64 s[0:1], v11, v12
	s_waitcnt lgkmcnt(0)
	v_cmp_lt_i32_e64 s[2:3], v13, v10
	s_and_b64 s[0:1], s[0:1], s[2:3]
	s_andn2_b64 s[2:3], s[16:17], exec
	s_and_b64 s[0:1], s[0:1], exec
	s_or_b64 s[16:17], s[2:3], s[0:1]
.LBB36_9:                               ;   in Loop: Header=BB36_7 Depth=1
	s_or_b64 exec, exec, s[18:19]
	s_and_saveexec_b64 s[0:1], s[16:17]
	s_cbranch_execz .LBB36_11
; %bb.10:                               ;   in Loop: Header=BB36_7 Depth=1
	v_mov_b32_e32 v11, v12
	s_waitcnt lgkmcnt(0)
	v_mov_b32_e32 v10, v13
.LBB36_11:                              ;   in Loop: Header=BB36_7 Depth=1
	s_or_b64 exec, exec, s[0:1]
	s_waitcnt lgkmcnt(0)
	ds_bpermute_b32 v13, v4, v11
	ds_bpermute_b32 v12, v4, v10
	s_waitcnt lgkmcnt(1)
	v_cmp_lt_f32_e64 s[16:17], v11, v13
	v_cmp_nlt_f32_e64 s[0:1], v11, v13
	s_and_saveexec_b64 s[18:19], s[0:1]
	s_cbranch_execz .LBB36_13
; %bb.12:                               ;   in Loop: Header=BB36_7 Depth=1
	v_cmp_eq_f32_e64 s[0:1], v11, v13
	s_waitcnt lgkmcnt(0)
	v_cmp_lt_i32_e64 s[2:3], v12, v10
	s_and_b64 s[0:1], s[0:1], s[2:3]
	s_andn2_b64 s[2:3], s[16:17], exec
	s_and_b64 s[0:1], s[0:1], exec
	s_or_b64 s[16:17], s[2:3], s[0:1]
.LBB36_13:                              ;   in Loop: Header=BB36_7 Depth=1
	s_or_b64 exec, exec, s[18:19]
	s_and_saveexec_b64 s[0:1], s[16:17]
	s_cbranch_execz .LBB36_15
; %bb.14:                               ;   in Loop: Header=BB36_7 Depth=1
	v_mov_b32_e32 v11, v13
	s_waitcnt lgkmcnt(0)
	v_mov_b32_e32 v10, v12
.LBB36_15:                              ;   in Loop: Header=BB36_7 Depth=1
	s_or_b64 exec, exec, s[0:1]
	ds_bpermute_b32 v13, v5, v11
	s_waitcnt lgkmcnt(1)
	ds_bpermute_b32 v12, v5, v10
	s_waitcnt lgkmcnt(1)
	v_cmp_lt_f32_e64 s[16:17], v11, v13
	v_cmp_nlt_f32_e64 s[0:1], v11, v13
	s_and_saveexec_b64 s[18:19], s[0:1]
	s_cbranch_execz .LBB36_17
; %bb.16:                               ;   in Loop: Header=BB36_7 Depth=1
	v_cmp_eq_f32_e64 s[0:1], v11, v13
	s_waitcnt lgkmcnt(0)
	v_cmp_lt_i32_e64 s[2:3], v12, v10
	s_and_b64 s[0:1], s[0:1], s[2:3]
	s_andn2_b64 s[2:3], s[16:17], exec
	s_and_b64 s[0:1], s[0:1], exec
	s_or_b64 s[16:17], s[2:3], s[0:1]
.LBB36_17:                              ;   in Loop: Header=BB36_7 Depth=1
	s_or_b64 exec, exec, s[18:19]
	s_and_saveexec_b64 s[0:1], s[16:17]
	s_cbranch_execz .LBB36_19
; %bb.18:                               ;   in Loop: Header=BB36_7 Depth=1
	v_mov_b32_e32 v11, v13
	s_waitcnt lgkmcnt(0)
	v_mov_b32_e32 v10, v12
.LBB36_19:                              ;   in Loop: Header=BB36_7 Depth=1
	s_or_b64 exec, exec, s[0:1]
	s_waitcnt lgkmcnt(0)
	ds_bpermute_b32 v12, v6, v11
	ds_bpermute_b32 v13, v6, v10
	s_waitcnt lgkmcnt(1)
	v_cmp_lt_f32_e64 s[16:17], v11, v12
	v_cmp_nlt_f32_e64 s[0:1], v11, v12
	s_and_saveexec_b64 s[18:19], s[0:1]
	s_cbranch_execnz .LBB36_25
; %bb.20:                               ;   in Loop: Header=BB36_7 Depth=1
	s_or_b64 exec, exec, s[18:19]
	s_and_saveexec_b64 s[0:1], s[16:17]
	s_cbranch_execnz .LBB36_26
.LBB36_21:                              ;   in Loop: Header=BB36_7 Depth=1
	s_or_b64 exec, exec, s[0:1]
	s_and_saveexec_b64 s[16:17], vcc
	s_cbranch_execz .LBB36_23
.LBB36_22:                              ;   in Loop: Header=BB36_7 Depth=1
	v_add_u32_e32 v12, s11, v8
	s_waitcnt lgkmcnt(0)
	v_ashrrev_i32_e32 v13, 31, v12
	v_cmp_le_i32_e64 s[0:1], s9, v10
	v_cmp_gt_i32_e64 s[2:3], s10, v10
	v_lshlrev_b64 v[12:13], 2, v[12:13]
	s_and_b64 s[2:3], s[0:1], s[2:3]
	v_mov_b32_e32 v15, s13
	v_add_co_u32_e64 v14, s[0:1], s12, v12
	v_addc_co_u32_e64 v15, s[0:1], v15, v13, s[0:1]
	global_store_dword v[14:15], v11, off
	v_subrev_u32_e32 v11, s9, v10
	s_and_b64 s[0:1], s[14:15], s[2:3]
	v_cndmask_b32_e64 v11, 64, v11, s[0:1]
	v_mov_b32_e32 v15, s5
	v_add_co_u32_e64 v14, s[0:1], s4, v12
	v_addc_co_u32_e64 v15, s[0:1], v15, v13, s[0:1]
	global_store_dword v[14:15], v11, off
	v_mov_b32_e32 v11, s7
	v_add_co_u32_e64 v12, s[0:1], s6, v12
	v_addc_co_u32_e64 v13, s[0:1], v11, v13, s[0:1]
	global_store_dword v[12:13], v1, off
.LBB36_23:                              ;   in Loop: Header=BB36_7 Depth=1
	s_or_b64 exec, exec, s[16:17]
	v_ashrrev_i32_e32 v12, 31, v10
	v_lshrrev_b32_e32 v11, 30, v12
	s_waitcnt lgkmcnt(0)
	v_add_u32_e32 v13, v10, v11
	v_ashrrev_i32_e32 v11, 2, v13
	v_ashrrev_i32_e32 v13, 31, v13
	v_lshrrev_b32_e32 v13, 28, v13
	v_add_u32_e32 v13, v11, v13
	s_add_i32 s11, s11, 1
	v_and_b32_e32 v13, -16, v13
	s_cmp_lt_i32 s11, s8
	v_sub_u32_e32 v13, v11, v13
	s_cselect_b64 s[2:3], -1, 0
	v_cmp_eq_u32_e64 s[0:1], v2, v13
	s_and_b64 s[2:3], s[2:3], s[0:1]
	s_and_saveexec_b64 s[0:1], s[2:3]
	s_cbranch_execz .LBB36_6
; %bb.24:                               ;   in Loop: Header=BB36_7 Depth=1
	v_lshrrev_b32_e32 v12, 26, v12
	v_add_u32_e32 v12, v10, v12
	v_lshlrev_b32_e32 v11, 2, v11
	v_ashrrev_i32_e32 v12, 6, v12
	v_sub_u32_e32 v10, v10, v11
	v_lshl_add_u32 v10, v12, 2, v10
	v_lshl_add_u32 v10, v10, 2, v0
	ds_write_b32 v10, v9
	s_branch .LBB36_6
.LBB36_25:                              ;   in Loop: Header=BB36_7 Depth=1
	v_cmp_eq_f32_e64 s[0:1], v11, v12
	s_waitcnt lgkmcnt(0)
	v_cmp_lt_i32_e64 s[2:3], v13, v10
	s_and_b64 s[0:1], s[0:1], s[2:3]
	s_andn2_b64 s[2:3], s[16:17], exec
	s_and_b64 s[0:1], s[0:1], exec
	s_or_b64 s[16:17], s[2:3], s[0:1]
	s_or_b64 exec, exec, s[18:19]
	s_and_saveexec_b64 s[0:1], s[16:17]
	s_cbranch_execz .LBB36_21
.LBB36_26:                              ;   in Loop: Header=BB36_7 Depth=1
	v_mov_b32_e32 v11, v12
	s_waitcnt lgkmcnt(0)
	v_mov_b32_e32 v10, v13
	s_or_b64 exec, exec, s[0:1]
	s_and_saveexec_b64 s[16:17], vcc
	s_cbranch_execnz .LBB36_22
	s_branch .LBB36_23
.LBB36_27:
	s_endpgm
	.section	.rodata,"a",@progbits
	.p2align	6, 0x0
	.amdhsa_kernel _ZN4vllm3moe17topkGatingSoftmaxILi4ELi64ELi4ELi16ELi64EjEEvPKfPKbPfiPT4_Piiii
		.amdhsa_group_segment_fixed_size 4096
		.amdhsa_private_segment_fixed_size 0
		.amdhsa_kernarg_size 60
		.amdhsa_user_sgpr_count 8
		.amdhsa_user_sgpr_private_segment_buffer 1
		.amdhsa_user_sgpr_dispatch_ptr 1
		.amdhsa_user_sgpr_queue_ptr 0
		.amdhsa_user_sgpr_kernarg_segment_ptr 1
		.amdhsa_user_sgpr_dispatch_id 0
		.amdhsa_user_sgpr_flat_scratch_init 0
		.amdhsa_user_sgpr_kernarg_preload_length 0
		.amdhsa_user_sgpr_kernarg_preload_offset 0
		.amdhsa_user_sgpr_private_segment_size 0
		.amdhsa_uses_dynamic_stack 0
		.amdhsa_system_sgpr_private_segment_wavefront_offset 0
		.amdhsa_system_sgpr_workgroup_id_x 1
		.amdhsa_system_sgpr_workgroup_id_y 0
		.amdhsa_system_sgpr_workgroup_id_z 0
		.amdhsa_system_sgpr_workgroup_info 0
		.amdhsa_system_vgpr_workitem_id 2
		.amdhsa_next_free_vgpr 26
		.amdhsa_next_free_sgpr 21
		.amdhsa_accum_offset 28
		.amdhsa_reserve_vcc 1
		.amdhsa_reserve_flat_scratch 0
		.amdhsa_float_round_mode_32 0
		.amdhsa_float_round_mode_16_64 0
		.amdhsa_float_denorm_mode_32 3
		.amdhsa_float_denorm_mode_16_64 3
		.amdhsa_dx10_clamp 1
		.amdhsa_ieee_mode 1
		.amdhsa_fp16_overflow 0
		.amdhsa_tg_split 0
		.amdhsa_exception_fp_ieee_invalid_op 0
		.amdhsa_exception_fp_denorm_src 0
		.amdhsa_exception_fp_ieee_div_zero 0
		.amdhsa_exception_fp_ieee_overflow 0
		.amdhsa_exception_fp_ieee_underflow 0
		.amdhsa_exception_fp_ieee_inexact 0
		.amdhsa_exception_int_div_zero 0
	.end_amdhsa_kernel
	.section	.text._ZN4vllm3moe17topkGatingSoftmaxILi4ELi64ELi4ELi16ELi64EjEEvPKfPKbPfiPT4_Piiii,"axG",@progbits,_ZN4vllm3moe17topkGatingSoftmaxILi4ELi64ELi4ELi16ELi64EjEEvPKfPKbPfiPT4_Piiii,comdat
.Lfunc_end36:
	.size	_ZN4vllm3moe17topkGatingSoftmaxILi4ELi64ELi4ELi16ELi64EjEEvPKfPKbPfiPT4_Piiii, .Lfunc_end36-_ZN4vllm3moe17topkGatingSoftmaxILi4ELi64ELi4ELi16ELi64EjEEvPKfPKbPfiPT4_Piiii
                                        ; -- End function
	.section	.AMDGPU.csdata,"",@progbits
; Kernel info:
; codeLenInByte = 1836
; NumSgprs: 25
; NumVgprs: 26
; NumAgprs: 0
; TotalNumVgprs: 26
; ScratchSize: 0
; MemoryBound: 0
; FloatMode: 240
; IeeeMode: 1
; LDSByteSize: 4096 bytes/workgroup (compile time only)
; SGPRBlocks: 3
; VGPRBlocks: 3
; NumSGPRsForWavesPerEU: 25
; NumVGPRsForWavesPerEU: 26
; AccumOffset: 28
; Occupancy: 8
; WaveLimiterHint : 0
; COMPUTE_PGM_RSRC2:SCRATCH_EN: 0
; COMPUTE_PGM_RSRC2:USER_SGPR: 8
; COMPUTE_PGM_RSRC2:TRAP_HANDLER: 0
; COMPUTE_PGM_RSRC2:TGID_X_EN: 1
; COMPUTE_PGM_RSRC2:TGID_Y_EN: 0
; COMPUTE_PGM_RSRC2:TGID_Z_EN: 0
; COMPUTE_PGM_RSRC2:TIDIG_COMP_CNT: 2
; COMPUTE_PGM_RSRC3_GFX90A:ACCUM_OFFSET: 6
; COMPUTE_PGM_RSRC3_GFX90A:TG_SPLIT: 0
	.section	.text._ZN4vllm3moe17topkGatingSoftmaxILi4ELi64ELi4ELi16ELi32EjEEvPKfPKbPfiPT4_Piiii,"axG",@progbits,_ZN4vllm3moe17topkGatingSoftmaxILi4ELi64ELi4ELi16ELi32EjEEvPKfPKbPfiPT4_Piiii,comdat
	.protected	_ZN4vllm3moe17topkGatingSoftmaxILi4ELi64ELi4ELi16ELi32EjEEvPKfPKbPfiPT4_Piiii ; -- Begin function _ZN4vllm3moe17topkGatingSoftmaxILi4ELi64ELi4ELi16ELi32EjEEvPKfPKbPfiPT4_Piiii
	.globl	_ZN4vllm3moe17topkGatingSoftmaxILi4ELi64ELi4ELi16ELi32EjEEvPKfPKbPfiPT4_Piiii
	.p2align	8
	.type	_ZN4vllm3moe17topkGatingSoftmaxILi4ELi64ELi4ELi16ELi32EjEEvPKfPKbPfiPT4_Piiii,@function
_ZN4vllm3moe17topkGatingSoftmaxILi4ELi64ELi4ELi16ELi32EjEEvPKfPKbPfiPT4_Piiii: ; @_ZN4vllm3moe17topkGatingSoftmaxILi4ELi64ELi4ELi16ELi32EjEEvPKfPKbPfiPT4_Piiii
; %bb.0:
	s_load_dword s20, s[6:7], 0x18
	v_and_b32_e32 v7, 0x3ff, v0
	v_bfe_u32 v8, v0, 10, 10
	s_lshl_b32 s0, s8, 3
	v_lshlrev_b32_e32 v1, 1, v8
	v_lshrrev_b32_e32 v2, 4, v7
	v_add3_u32 v1, s0, v1, v2
	s_waitcnt lgkmcnt(0)
	v_cmp_gt_i32_e32 vcc, s20, v1
	s_and_saveexec_b64 s[0:1], vcc
	s_cbranch_execz .LBB37_27
; %bb.1:
	s_load_dwordx4 s[0:3], s[6:7], 0x0
	s_load_dwordx2 s[12:13], s[6:7], 0x10
	s_waitcnt lgkmcnt(0)
	s_cmp_eq_u64 s[2:3], 0
	s_cbranch_scc1 .LBB37_3
; %bb.2:
	v_ashrrev_i32_e32 v3, 31, v1
	v_mov_b32_e32 v4, s3
	v_add_co_u32_e32 v2, vcc, s2, v1
	v_addc_co_u32_e32 v3, vcc, v4, v3, vcc
	global_load_ubyte v2, v[2:3], off
	s_waitcnt vmcnt(0)
	v_and_b32_e32 v2, 1, v2
	v_cmp_eq_u32_e32 vcc, 1, v2
	s_xor_b64 s[2:3], vcc, -1
	s_orn2_b64 s[14:15], s[2:3], exec
	s_branch .LBB37_4
.LBB37_3:
	s_mov_b64 s[14:15], -1
.LBB37_4:
	v_lshlrev_b32_e32 v2, 6, v1
	v_ashrrev_i32_e32 v3, 31, v2
	v_lshlrev_b64 v[2:3], 2, v[2:3]
	v_mov_b32_e32 v4, s1
	v_add_co_u32_e32 v5, vcc, s0, v2
	v_and_b32_e32 v2, 15, v7
	v_addc_co_u32_e32 v3, vcc, v4, v3, vcc
	v_lshlrev_b32_e32 v4, 4, v2
	v_add_co_u32_e32 v4, vcc, v5, v4
	v_addc_co_u32_e32 v5, vcc, 0, v3, vcc
	global_load_dwordx4 v[10:13], v[4:5], off
	v_mbcnt_lo_u32_b32 v3, -1, 0
	v_mbcnt_hi_u32_b32 v6, -1, v3
	v_and_b32_e32 v3, 0x70, v6
	v_xor_b32_e32 v4, 8, v6
	v_add_u32_e32 v9, 16, v3
	v_cmp_lt_i32_e32 vcc, v4, v9
	v_cndmask_b32_e32 v3, v6, v4, vcc
	v_lshlrev_b32_e32 v3, 2, v3
	v_xor_b32_e32 v16, 1, v6
	s_mov_b32 s0, 0x3fb8aa3b
	s_mov_b32 s1, 0xc2ce8ed0
	;; [unrolled: 1-line block ×3, first 2 shown]
	v_bfe_u32 v0, v0, 20, 10
	s_waitcnt vmcnt(0)
	v_max_f32_e32 v4, v11, v11
	v_max_f32_e32 v5, v10, v10
	;; [unrolled: 1-line block ×3, first 2 shown]
	v_max3_f32 v5, v4, v12, v13
	ds_bpermute_b32 v14, v3, v5
	v_xor_b32_e32 v4, 4, v6
	v_cmp_lt_i32_e32 vcc, v4, v9
	v_cndmask_b32_e32 v4, v6, v4, vcc
	v_lshlrev_b32_e32 v4, 2, v4
	s_waitcnt lgkmcnt(0)
	v_max_f32_e32 v14, v14, v14
	v_max_f32_e32 v14, v5, v14
	ds_bpermute_b32 v15, v4, v14
	v_xor_b32_e32 v5, 2, v6
	v_cmp_lt_i32_e32 vcc, v5, v9
	v_cndmask_b32_e32 v5, v6, v5, vcc
	v_lshlrev_b32_e32 v5, 2, v5
	s_waitcnt lgkmcnt(0)
	v_max_f32_e32 v15, v15, v15
	v_max_f32_e32 v14, v14, v15
	ds_bpermute_b32 v15, v5, v14
	v_cmp_lt_i32_e32 vcc, v16, v9
	v_cndmask_b32_e32 v6, v6, v16, vcc
	v_lshlrev_b32_e32 v6, 2, v6
	s_waitcnt lgkmcnt(0)
	v_max_f32_e32 v9, v15, v15
	v_max_f32_e32 v9, v14, v9
	ds_bpermute_b32 v14, v6, v9
	v_mov_b32_e32 v15, 0x7f800000
	s_waitcnt lgkmcnt(0)
	v_max_f32_e32 v14, v14, v14
	v_max_f32_e32 v14, v9, v14
	v_pk_add_f32 v[12:13], v[12:13], v[14:15] op_sel_hi:[1,0] neg_lo:[0,1] neg_hi:[0,1]
	v_mul_f32_e32 v9, 0x3fb8aa3b, v13
	v_pk_add_f32 v[10:11], v[10:11], v[14:15] op_sel_hi:[1,0] neg_lo:[0,1] neg_hi:[0,1]
	v_mul_f32_e32 v14, 0x3fb8aa3b, v12
	v_fma_f32 v18, v13, s0, -v9
	v_rndne_f32_e32 v19, v9
	v_mul_f32_e32 v16, 0x3fb8aa3b, v11
	v_fma_f32 v20, v12, s0, -v14
	v_rndne_f32_e32 v21, v14
	v_fmac_f32_e32 v18, 0x32a5705f, v13
	v_sub_f32_e32 v9, v9, v19
	v_mul_f32_e32 v17, 0x3fb8aa3b, v10
	v_fma_f32 v22, v11, s0, -v16
	v_rndne_f32_e32 v23, v16
	v_fmac_f32_e32 v20, 0x32a5705f, v12
	v_sub_f32_e32 v14, v14, v21
	v_add_f32_e32 v9, v9, v18
	v_fma_f32 v24, v10, s0, -v17
	v_rndne_f32_e32 v25, v17
	v_cvt_i32_f32_e32 v19, v19
	v_fmac_f32_e32 v22, 0x32a5705f, v11
	v_sub_f32_e32 v16, v16, v23
	v_add_f32_e32 v14, v14, v20
	v_exp_f32_e32 v9, v9
	v_cvt_i32_f32_e32 v21, v21
	v_fmac_f32_e32 v24, 0x32a5705f, v10
	v_sub_f32_e32 v17, v17, v25
	v_add_f32_e32 v16, v16, v22
	v_exp_f32_e32 v14, v14
	v_cvt_i32_f32_e32 v23, v23
	v_add_f32_e32 v17, v17, v24
	v_exp_f32_e32 v16, v16
	v_cvt_i32_f32_e32 v25, v25
	v_exp_f32_e32 v17, v17
	v_ldexp_f32 v9, v9, v19
	v_cmp_ngt_f32_e32 vcc, s1, v13
	v_ldexp_f32 v14, v14, v21
	v_cndmask_b32_e32 v9, 0, v9, vcc
	v_cmp_ngt_f32_e32 vcc, s1, v12
	v_ldexp_f32 v16, v16, v23
	v_cndmask_b32_e32 v14, 0, v14, vcc
	;; [unrolled: 3-line block ×3, first 2 shown]
	v_cmp_ngt_f32_e32 vcc, s1, v10
	v_cndmask_b32_e32 v17, 0, v17, vcc
	v_cmp_nlt_f32_e32 vcc, s2, v13
	v_cndmask_b32_e32 v13, v15, v9, vcc
	v_cmp_nlt_f32_e32 vcc, s2, v12
	;; [unrolled: 2-line block ×4, first 2 shown]
	v_cndmask_b32_e32 v10, v15, v17, vcc
	v_add_f32_e32 v9, v10, v11
	v_add_f32_e32 v9, v9, v12
	;; [unrolled: 1-line block ×3, first 2 shown]
	ds_bpermute_b32 v14, v3, v9
	s_load_dwordx4 s[8:11], s[6:7], 0x30
	s_load_dwordx2 s[0:1], s[4:5], 0x4
	s_waitcnt lgkmcnt(0)
	s_mov_b32 s11, 0
	v_add_f32_e32 v9, v9, v14
	ds_bpermute_b32 v14, v4, v9
	s_lshr_b32 s0, s0, 16
	v_mul_u32_u24_e32 v8, s1, v8
	s_mul_i32 s0, s0, s1
	v_mad_u32_u24 v7, s0, v7, v8
	s_waitcnt lgkmcnt(0)
	v_add_f32_e32 v9, v9, v14
	ds_bpermute_b32 v14, v5, v9
	v_add_lshl_u32 v0, v7, v0, 4
	s_cmp_lt_i32 s8, 1
	s_waitcnt lgkmcnt(0)
	v_add_f32_e32 v9, v9, v14
	ds_bpermute_b32 v14, v6, v9
	s_waitcnt lgkmcnt(0)
	v_add_f32_e32 v8, v9, v14
	v_div_scale_f32 v9, s[0:1], v8, v8, 1.0
	v_rcp_f32_e32 v14, v9
	v_div_scale_f32 v7, vcc, 1.0, v8, 1.0
	v_fma_f32 v15, -v9, v14, 1.0
	v_fmac_f32_e32 v14, v15, v14
	v_mul_f32_e32 v15, v7, v14
	v_fma_f32 v16, -v9, v15, v7
	v_fmac_f32_e32 v15, v16, v14
	v_fma_f32 v7, -v9, v15, v7
	v_div_fmas_f32 v7, v7, v14, v15
	v_div_fixup_f32 v14, v7, v8, 1.0
	v_pk_mul_f32 v[8:9], v[14:15], v[10:11] op_sel_hi:[0,1]
	v_pk_mul_f32 v[10:11], v[14:15], v[12:13] op_sel_hi:[0,1]
	ds_write_b128 v0, v[8:11]
	s_cbranch_scc1 .LBB37_27
; %bb.5:
	s_load_dwordx4 s[4:7], s[6:7], 0x20
	v_lshlrev_b32_e32 v7, 2, v2
	v_cmp_eq_u32_e32 vcc, 0, v2
	v_mul_lo_u32 v8, v1, s8
	v_mov_b32_e32 v9, 0xc61c4000
	s_branch .LBB37_7
.LBB37_6:                               ;   in Loop: Header=BB37_7 Depth=1
	s_or_b64 exec, exec, s[0:1]
	s_cmp_lg_u32 s8, s11
	v_add_u32_e32 v1, s20, v1
	s_cbranch_scc0 .LBB37_27
.LBB37_7:                               ; =>This Inner Loop Header: Depth=1
	ds_read_b128 v[10:13], v0
	s_waitcnt lgkmcnt(0)
	v_cmp_gt_f32_e64 s[0:1], v11, v10
	v_cndmask_b32_e64 v10, v10, v11, s[0:1]
	v_cndmask_b32_e64 v11, 0, 1, s[0:1]
	v_cmp_gt_f32_e64 s[0:1], v12, v10
	v_cndmask_b32_e64 v10, v10, v12, s[0:1]
	v_cndmask_b32_e64 v12, v11, 2, s[0:1]
	;; [unrolled: 3-line block ×3, first 2 shown]
	ds_bpermute_b32 v12, v3, v11
	v_or_b32_e32 v10, v7, v10
	ds_bpermute_b32 v13, v3, v10
	s_waitcnt lgkmcnt(1)
	v_cmp_lt_f32_e64 s[16:17], v11, v12
	v_cmp_nlt_f32_e64 s[0:1], v11, v12
	s_and_saveexec_b64 s[18:19], s[0:1]
	s_cbranch_execz .LBB37_9
; %bb.8:                                ;   in Loop: Header=BB37_7 Depth=1
	v_cmp_eq_f32_e64 s[0:1], v11, v12
	s_waitcnt lgkmcnt(0)
	v_cmp_lt_i32_e64 s[2:3], v13, v10
	s_and_b64 s[0:1], s[0:1], s[2:3]
	s_andn2_b64 s[2:3], s[16:17], exec
	s_and_b64 s[0:1], s[0:1], exec
	s_or_b64 s[16:17], s[2:3], s[0:1]
.LBB37_9:                               ;   in Loop: Header=BB37_7 Depth=1
	s_or_b64 exec, exec, s[18:19]
	s_and_saveexec_b64 s[0:1], s[16:17]
	s_cbranch_execz .LBB37_11
; %bb.10:                               ;   in Loop: Header=BB37_7 Depth=1
	v_mov_b32_e32 v11, v12
	s_waitcnt lgkmcnt(0)
	v_mov_b32_e32 v10, v13
.LBB37_11:                              ;   in Loop: Header=BB37_7 Depth=1
	s_or_b64 exec, exec, s[0:1]
	s_waitcnt lgkmcnt(0)
	ds_bpermute_b32 v13, v4, v11
	ds_bpermute_b32 v12, v4, v10
	s_waitcnt lgkmcnt(1)
	v_cmp_lt_f32_e64 s[16:17], v11, v13
	v_cmp_nlt_f32_e64 s[0:1], v11, v13
	s_and_saveexec_b64 s[18:19], s[0:1]
	s_cbranch_execz .LBB37_13
; %bb.12:                               ;   in Loop: Header=BB37_7 Depth=1
	v_cmp_eq_f32_e64 s[0:1], v11, v13
	s_waitcnt lgkmcnt(0)
	v_cmp_lt_i32_e64 s[2:3], v12, v10
	s_and_b64 s[0:1], s[0:1], s[2:3]
	s_andn2_b64 s[2:3], s[16:17], exec
	s_and_b64 s[0:1], s[0:1], exec
	s_or_b64 s[16:17], s[2:3], s[0:1]
.LBB37_13:                              ;   in Loop: Header=BB37_7 Depth=1
	s_or_b64 exec, exec, s[18:19]
	s_and_saveexec_b64 s[0:1], s[16:17]
	s_cbranch_execz .LBB37_15
; %bb.14:                               ;   in Loop: Header=BB37_7 Depth=1
	v_mov_b32_e32 v11, v13
	s_waitcnt lgkmcnt(0)
	v_mov_b32_e32 v10, v12
.LBB37_15:                              ;   in Loop: Header=BB37_7 Depth=1
	s_or_b64 exec, exec, s[0:1]
	ds_bpermute_b32 v13, v5, v11
	s_waitcnt lgkmcnt(1)
	ds_bpermute_b32 v12, v5, v10
	s_waitcnt lgkmcnt(1)
	v_cmp_lt_f32_e64 s[16:17], v11, v13
	v_cmp_nlt_f32_e64 s[0:1], v11, v13
	s_and_saveexec_b64 s[18:19], s[0:1]
	s_cbranch_execz .LBB37_17
; %bb.16:                               ;   in Loop: Header=BB37_7 Depth=1
	v_cmp_eq_f32_e64 s[0:1], v11, v13
	s_waitcnt lgkmcnt(0)
	v_cmp_lt_i32_e64 s[2:3], v12, v10
	s_and_b64 s[0:1], s[0:1], s[2:3]
	s_andn2_b64 s[2:3], s[16:17], exec
	s_and_b64 s[0:1], s[0:1], exec
	s_or_b64 s[16:17], s[2:3], s[0:1]
.LBB37_17:                              ;   in Loop: Header=BB37_7 Depth=1
	s_or_b64 exec, exec, s[18:19]
	s_and_saveexec_b64 s[0:1], s[16:17]
	s_cbranch_execz .LBB37_19
; %bb.18:                               ;   in Loop: Header=BB37_7 Depth=1
	v_mov_b32_e32 v11, v13
	s_waitcnt lgkmcnt(0)
	v_mov_b32_e32 v10, v12
.LBB37_19:                              ;   in Loop: Header=BB37_7 Depth=1
	s_or_b64 exec, exec, s[0:1]
	s_waitcnt lgkmcnt(0)
	ds_bpermute_b32 v12, v6, v11
	ds_bpermute_b32 v13, v6, v10
	s_waitcnt lgkmcnt(1)
	v_cmp_lt_f32_e64 s[16:17], v11, v12
	v_cmp_nlt_f32_e64 s[0:1], v11, v12
	s_and_saveexec_b64 s[18:19], s[0:1]
	s_cbranch_execnz .LBB37_25
; %bb.20:                               ;   in Loop: Header=BB37_7 Depth=1
	s_or_b64 exec, exec, s[18:19]
	s_and_saveexec_b64 s[0:1], s[16:17]
	s_cbranch_execnz .LBB37_26
.LBB37_21:                              ;   in Loop: Header=BB37_7 Depth=1
	s_or_b64 exec, exec, s[0:1]
	s_and_saveexec_b64 s[16:17], vcc
	s_cbranch_execz .LBB37_23
.LBB37_22:                              ;   in Loop: Header=BB37_7 Depth=1
	v_add_u32_e32 v12, s11, v8
	s_waitcnt lgkmcnt(0)
	v_ashrrev_i32_e32 v13, 31, v12
	v_cmp_le_i32_e64 s[0:1], s9, v10
	v_cmp_gt_i32_e64 s[2:3], s10, v10
	v_lshlrev_b64 v[12:13], 2, v[12:13]
	s_and_b64 s[2:3], s[0:1], s[2:3]
	v_mov_b32_e32 v15, s13
	v_add_co_u32_e64 v14, s[0:1], s12, v12
	v_addc_co_u32_e64 v15, s[0:1], v15, v13, s[0:1]
	global_store_dword v[14:15], v11, off
	v_subrev_u32_e32 v11, s9, v10
	s_and_b64 s[0:1], s[14:15], s[2:3]
	v_cndmask_b32_e64 v11, 64, v11, s[0:1]
	v_mov_b32_e32 v15, s5
	v_add_co_u32_e64 v14, s[0:1], s4, v12
	v_addc_co_u32_e64 v15, s[0:1], v15, v13, s[0:1]
	global_store_dword v[14:15], v11, off
	v_mov_b32_e32 v11, s7
	v_add_co_u32_e64 v12, s[0:1], s6, v12
	v_addc_co_u32_e64 v13, s[0:1], v11, v13, s[0:1]
	global_store_dword v[12:13], v1, off
.LBB37_23:                              ;   in Loop: Header=BB37_7 Depth=1
	s_or_b64 exec, exec, s[16:17]
	v_ashrrev_i32_e32 v12, 31, v10
	v_lshrrev_b32_e32 v11, 30, v12
	s_waitcnt lgkmcnt(0)
	v_add_u32_e32 v13, v10, v11
	v_ashrrev_i32_e32 v11, 2, v13
	v_ashrrev_i32_e32 v13, 31, v13
	v_lshrrev_b32_e32 v13, 28, v13
	v_add_u32_e32 v13, v11, v13
	s_add_i32 s11, s11, 1
	v_and_b32_e32 v13, -16, v13
	s_cmp_lt_i32 s11, s8
	v_sub_u32_e32 v13, v11, v13
	s_cselect_b64 s[2:3], -1, 0
	v_cmp_eq_u32_e64 s[0:1], v2, v13
	s_and_b64 s[2:3], s[2:3], s[0:1]
	s_and_saveexec_b64 s[0:1], s[2:3]
	s_cbranch_execz .LBB37_6
; %bb.24:                               ;   in Loop: Header=BB37_7 Depth=1
	v_lshrrev_b32_e32 v12, 26, v12
	v_add_u32_e32 v12, v10, v12
	v_lshlrev_b32_e32 v11, 2, v11
	v_ashrrev_i32_e32 v12, 6, v12
	v_sub_u32_e32 v10, v10, v11
	v_lshl_add_u32 v10, v12, 2, v10
	v_lshl_add_u32 v10, v10, 2, v0
	ds_write_b32 v10, v9
	s_branch .LBB37_6
.LBB37_25:                              ;   in Loop: Header=BB37_7 Depth=1
	v_cmp_eq_f32_e64 s[0:1], v11, v12
	s_waitcnt lgkmcnt(0)
	v_cmp_lt_i32_e64 s[2:3], v13, v10
	s_and_b64 s[0:1], s[0:1], s[2:3]
	s_andn2_b64 s[2:3], s[16:17], exec
	s_and_b64 s[0:1], s[0:1], exec
	s_or_b64 s[16:17], s[2:3], s[0:1]
	s_or_b64 exec, exec, s[18:19]
	s_and_saveexec_b64 s[0:1], s[16:17]
	s_cbranch_execz .LBB37_21
.LBB37_26:                              ;   in Loop: Header=BB37_7 Depth=1
	v_mov_b32_e32 v11, v12
	s_waitcnt lgkmcnt(0)
	v_mov_b32_e32 v10, v13
	s_or_b64 exec, exec, s[0:1]
	s_and_saveexec_b64 s[16:17], vcc
	s_cbranch_execnz .LBB37_22
	s_branch .LBB37_23
.LBB37_27:
	s_endpgm
	.section	.rodata,"a",@progbits
	.p2align	6, 0x0
	.amdhsa_kernel _ZN4vllm3moe17topkGatingSoftmaxILi4ELi64ELi4ELi16ELi32EjEEvPKfPKbPfiPT4_Piiii
		.amdhsa_group_segment_fixed_size 2048
		.amdhsa_private_segment_fixed_size 0
		.amdhsa_kernarg_size 60
		.amdhsa_user_sgpr_count 8
		.amdhsa_user_sgpr_private_segment_buffer 1
		.amdhsa_user_sgpr_dispatch_ptr 1
		.amdhsa_user_sgpr_queue_ptr 0
		.amdhsa_user_sgpr_kernarg_segment_ptr 1
		.amdhsa_user_sgpr_dispatch_id 0
		.amdhsa_user_sgpr_flat_scratch_init 0
		.amdhsa_user_sgpr_kernarg_preload_length 0
		.amdhsa_user_sgpr_kernarg_preload_offset 0
		.amdhsa_user_sgpr_private_segment_size 0
		.amdhsa_uses_dynamic_stack 0
		.amdhsa_system_sgpr_private_segment_wavefront_offset 0
		.amdhsa_system_sgpr_workgroup_id_x 1
		.amdhsa_system_sgpr_workgroup_id_y 0
		.amdhsa_system_sgpr_workgroup_id_z 0
		.amdhsa_system_sgpr_workgroup_info 0
		.amdhsa_system_vgpr_workitem_id 2
		.amdhsa_next_free_vgpr 26
		.amdhsa_next_free_sgpr 21
		.amdhsa_accum_offset 28
		.amdhsa_reserve_vcc 1
		.amdhsa_reserve_flat_scratch 0
		.amdhsa_float_round_mode_32 0
		.amdhsa_float_round_mode_16_64 0
		.amdhsa_float_denorm_mode_32 3
		.amdhsa_float_denorm_mode_16_64 3
		.amdhsa_dx10_clamp 1
		.amdhsa_ieee_mode 1
		.amdhsa_fp16_overflow 0
		.amdhsa_tg_split 0
		.amdhsa_exception_fp_ieee_invalid_op 0
		.amdhsa_exception_fp_denorm_src 0
		.amdhsa_exception_fp_ieee_div_zero 0
		.amdhsa_exception_fp_ieee_overflow 0
		.amdhsa_exception_fp_ieee_underflow 0
		.amdhsa_exception_fp_ieee_inexact 0
		.amdhsa_exception_int_div_zero 0
	.end_amdhsa_kernel
	.section	.text._ZN4vllm3moe17topkGatingSoftmaxILi4ELi64ELi4ELi16ELi32EjEEvPKfPKbPfiPT4_Piiii,"axG",@progbits,_ZN4vllm3moe17topkGatingSoftmaxILi4ELi64ELi4ELi16ELi32EjEEvPKfPKbPfiPT4_Piiii,comdat
.Lfunc_end37:
	.size	_ZN4vllm3moe17topkGatingSoftmaxILi4ELi64ELi4ELi16ELi32EjEEvPKfPKbPfiPT4_Piiii, .Lfunc_end37-_ZN4vllm3moe17topkGatingSoftmaxILi4ELi64ELi4ELi16ELi32EjEEvPKfPKbPfiPT4_Piiii
                                        ; -- End function
	.section	.AMDGPU.csdata,"",@progbits
; Kernel info:
; codeLenInByte = 1832
; NumSgprs: 25
; NumVgprs: 26
; NumAgprs: 0
; TotalNumVgprs: 26
; ScratchSize: 0
; MemoryBound: 0
; FloatMode: 240
; IeeeMode: 1
; LDSByteSize: 2048 bytes/workgroup (compile time only)
; SGPRBlocks: 3
; VGPRBlocks: 3
; NumSGPRsForWavesPerEU: 25
; NumVGPRsForWavesPerEU: 26
; AccumOffset: 28
; Occupancy: 8
; WaveLimiterHint : 0
; COMPUTE_PGM_RSRC2:SCRATCH_EN: 0
; COMPUTE_PGM_RSRC2:USER_SGPR: 8
; COMPUTE_PGM_RSRC2:TRAP_HANDLER: 0
; COMPUTE_PGM_RSRC2:TGID_X_EN: 1
; COMPUTE_PGM_RSRC2:TGID_Y_EN: 0
; COMPUTE_PGM_RSRC2:TGID_Z_EN: 0
; COMPUTE_PGM_RSRC2:TIDIG_COMP_CNT: 2
; COMPUTE_PGM_RSRC3_GFX90A:ACCUM_OFFSET: 6
; COMPUTE_PGM_RSRC3_GFX90A:TG_SPLIT: 0
	.section	.text._ZN4vllm3moe17topkGatingSoftmaxILi4ELi128ELi4ELi16ELi64EjEEvPKfPKbPfiPT4_Piiii,"axG",@progbits,_ZN4vllm3moe17topkGatingSoftmaxILi4ELi128ELi4ELi16ELi64EjEEvPKfPKbPfiPT4_Piiii,comdat
	.protected	_ZN4vllm3moe17topkGatingSoftmaxILi4ELi128ELi4ELi16ELi64EjEEvPKfPKbPfiPT4_Piiii ; -- Begin function _ZN4vllm3moe17topkGatingSoftmaxILi4ELi128ELi4ELi16ELi64EjEEvPKfPKbPfiPT4_Piiii
	.globl	_ZN4vllm3moe17topkGatingSoftmaxILi4ELi128ELi4ELi16ELi64EjEEvPKfPKbPfiPT4_Piiii
	.p2align	8
	.type	_ZN4vllm3moe17topkGatingSoftmaxILi4ELi128ELi4ELi16ELi64EjEEvPKfPKbPfiPT4_Piiii,@function
_ZN4vllm3moe17topkGatingSoftmaxILi4ELi128ELi4ELi16ELi64EjEEvPKfPKbPfiPT4_Piiii: ; @_ZN4vllm3moe17topkGatingSoftmaxILi4ELi128ELi4ELi16ELi64EjEEvPKfPKbPfiPT4_Piiii
; %bb.0:
	s_load_dword s20, s[6:7], 0x18
	v_and_b32_e32 v8, 0x3ff, v0
	v_bfe_u32 v9, v0, 10, 10
	s_lshl_b32 s0, s8, 3
	v_lshlrev_b32_e32 v1, 1, v9
	v_lshrrev_b32_e32 v2, 5, v8
	v_add3_u32 v1, s0, v1, v2
	s_waitcnt lgkmcnt(0)
	v_cmp_gt_i32_e32 vcc, s20, v1
	s_and_saveexec_b64 s[0:1], vcc
	s_cbranch_execz .LBB38_31
; %bb.1:
	s_load_dwordx4 s[0:3], s[6:7], 0x0
	s_load_dwordx2 s[12:13], s[6:7], 0x10
	s_waitcnt lgkmcnt(0)
	s_cmp_eq_u64 s[2:3], 0
	s_cbranch_scc1 .LBB38_3
; %bb.2:
	v_ashrrev_i32_e32 v3, 31, v1
	v_mov_b32_e32 v4, s3
	v_add_co_u32_e32 v2, vcc, s2, v1
	v_addc_co_u32_e32 v3, vcc, v4, v3, vcc
	global_load_ubyte v2, v[2:3], off
	s_waitcnt vmcnt(0)
	v_and_b32_e32 v2, 1, v2
	v_cmp_eq_u32_e32 vcc, 1, v2
	s_xor_b64 s[2:3], vcc, -1
	s_orn2_b64 s[14:15], s[2:3], exec
	s_branch .LBB38_4
.LBB38_3:
	s_mov_b64 s[14:15], -1
.LBB38_4:
	v_lshlrev_b32_e32 v2, 7, v1
	v_ashrrev_i32_e32 v3, 31, v2
	v_lshlrev_b64 v[2:3], 2, v[2:3]
	v_mov_b32_e32 v4, s1
	v_add_co_u32_e32 v5, vcc, s0, v2
	v_and_b32_e32 v2, 31, v8
	v_addc_co_u32_e32 v3, vcc, v4, v3, vcc
	v_lshlrev_b32_e32 v4, 4, v2
	v_add_co_u32_e32 v4, vcc, v5, v4
	v_addc_co_u32_e32 v5, vcc, 0, v3, vcc
	global_load_dwordx4 v[10:13], v[4:5], off
	v_mbcnt_lo_u32_b32 v3, -1, 0
	v_mbcnt_hi_u32_b32 v7, -1, v3
	v_and_b32_e32 v3, 0x60, v7
	v_xor_b32_e32 v4, 16, v7
	v_add_u32_e32 v14, 32, v3
	v_cmp_lt_i32_e32 vcc, v4, v14
	v_cndmask_b32_e32 v3, v7, v4, vcc
	v_lshlrev_b32_e32 v3, 2, v3
	v_xor_b32_e32 v17, 1, v7
	s_mov_b32 s0, 0x3fb8aa3b
	s_mov_b32 s1, 0xc2ce8ed0
	;; [unrolled: 1-line block ×3, first 2 shown]
	v_bfe_u32 v0, v0, 20, 10
	s_waitcnt vmcnt(0)
	v_max_f32_e32 v4, v11, v11
	v_max_f32_e32 v5, v10, v10
	;; [unrolled: 1-line block ×3, first 2 shown]
	v_max3_f32 v5, v4, v12, v13
	ds_bpermute_b32 v6, v3, v5
	v_xor_b32_e32 v4, 8, v7
	v_cmp_lt_i32_e32 vcc, v4, v14
	v_cndmask_b32_e32 v4, v7, v4, vcc
	v_lshlrev_b32_e32 v4, 2, v4
	s_waitcnt lgkmcnt(0)
	v_max_f32_e32 v6, v6, v6
	v_max_f32_e32 v6, v5, v6
	ds_bpermute_b32 v15, v4, v6
	v_xor_b32_e32 v5, 4, v7
	v_cmp_lt_i32_e32 vcc, v5, v14
	v_cndmask_b32_e32 v5, v7, v5, vcc
	v_lshlrev_b32_e32 v5, 2, v5
	s_waitcnt lgkmcnt(0)
	v_max_f32_e32 v15, v15, v15
	v_max_f32_e32 v15, v6, v15
	;; [unrolled: 8-line block ×3, first 2 shown]
	ds_bpermute_b32 v16, v6, v15
	v_cmp_lt_i32_e32 vcc, v17, v14
	v_cndmask_b32_e32 v7, v7, v17, vcc
	v_lshlrev_b32_e32 v7, 2, v7
	s_waitcnt lgkmcnt(0)
	v_max_f32_e32 v14, v16, v16
	v_max_f32_e32 v14, v15, v14
	ds_bpermute_b32 v15, v7, v14
	v_mov_b32_e32 v16, 0x7f800000
	s_waitcnt lgkmcnt(0)
	v_max_f32_e32 v15, v15, v15
	v_max_f32_e32 v14, v14, v15
	v_pk_add_f32 v[12:13], v[12:13], v[14:15] op_sel_hi:[1,0] neg_lo:[0,1] neg_hi:[0,1]
	v_pk_add_f32 v[10:11], v[10:11], v[14:15] op_sel_hi:[1,0] neg_lo:[0,1] neg_hi:[0,1]
	v_mul_f32_e32 v14, 0x3fb8aa3b, v13
	v_mul_f32_e32 v15, 0x3fb8aa3b, v12
	v_fma_f32 v19, v13, s0, -v14
	v_rndne_f32_e32 v20, v14
	v_mul_f32_e32 v17, 0x3fb8aa3b, v11
	v_fma_f32 v21, v12, s0, -v15
	v_rndne_f32_e32 v22, v15
	v_fmac_f32_e32 v19, 0x32a5705f, v13
	v_sub_f32_e32 v14, v14, v20
	v_mul_f32_e32 v18, 0x3fb8aa3b, v10
	v_fma_f32 v23, v11, s0, -v17
	v_rndne_f32_e32 v24, v17
	v_fmac_f32_e32 v21, 0x32a5705f, v12
	v_sub_f32_e32 v15, v15, v22
	v_add_f32_e32 v14, v14, v19
	v_fma_f32 v25, v10, s0, -v18
	v_rndne_f32_e32 v26, v18
	v_cvt_i32_f32_e32 v20, v20
	v_fmac_f32_e32 v23, 0x32a5705f, v11
	v_sub_f32_e32 v17, v17, v24
	v_add_f32_e32 v15, v15, v21
	v_exp_f32_e32 v14, v14
	v_cvt_i32_f32_e32 v22, v22
	v_fmac_f32_e32 v25, 0x32a5705f, v10
	v_sub_f32_e32 v18, v18, v26
	v_add_f32_e32 v17, v17, v23
	v_exp_f32_e32 v15, v15
	v_cvt_i32_f32_e32 v24, v24
	v_add_f32_e32 v18, v18, v25
	v_exp_f32_e32 v17, v17
	v_cvt_i32_f32_e32 v26, v26
	v_exp_f32_e32 v18, v18
	v_ldexp_f32 v14, v14, v20
	v_cmp_ngt_f32_e32 vcc, s1, v13
	v_ldexp_f32 v15, v15, v22
	v_cndmask_b32_e32 v14, 0, v14, vcc
	v_cmp_ngt_f32_e32 vcc, s1, v12
	v_ldexp_f32 v17, v17, v24
	v_cndmask_b32_e32 v15, 0, v15, vcc
	;; [unrolled: 3-line block ×3, first 2 shown]
	v_cmp_ngt_f32_e32 vcc, s1, v10
	v_cndmask_b32_e32 v18, 0, v18, vcc
	v_cmp_nlt_f32_e32 vcc, s2, v13
	v_cndmask_b32_e32 v13, v16, v14, vcc
	v_cmp_nlt_f32_e32 vcc, s2, v12
	;; [unrolled: 2-line block ×4, first 2 shown]
	v_cndmask_b32_e32 v10, v16, v18, vcc
	v_add_f32_e32 v14, v10, v11
	v_add_f32_e32 v14, v14, v12
	;; [unrolled: 1-line block ×3, first 2 shown]
	ds_bpermute_b32 v15, v3, v14
	s_load_dwordx4 s[8:11], s[6:7], 0x30
	s_load_dwordx2 s[0:1], s[4:5], 0x4
	s_waitcnt lgkmcnt(0)
	s_mov_b32 s11, 0
	v_add_f32_e32 v14, v14, v15
	ds_bpermute_b32 v15, v4, v14
	s_lshr_b32 s0, s0, 16
	s_mul_i32 s0, s0, s1
	v_mul_lo_u32 v8, s0, v8
	v_mad_u32_u24 v8, v9, s1, v8
	s_waitcnt lgkmcnt(0)
	v_add_f32_e32 v14, v14, v15
	ds_bpermute_b32 v15, v5, v14
	v_add_lshl_u32 v0, v8, v0, 4
	s_cmp_lt_i32 s8, 1
	s_waitcnt lgkmcnt(0)
	v_add_f32_e32 v14, v14, v15
	ds_bpermute_b32 v15, v6, v14
	s_waitcnt lgkmcnt(0)
	v_add_f32_e32 v14, v14, v15
	ds_bpermute_b32 v15, v7, v14
	s_waitcnt lgkmcnt(0)
	v_add_f32_e32 v9, v14, v15
	v_div_scale_f32 v14, s[0:1], v9, v9, 1.0
	v_rcp_f32_e32 v15, v14
	v_div_scale_f32 v8, vcc, 1.0, v9, 1.0
	v_fma_f32 v16, -v14, v15, 1.0
	v_fmac_f32_e32 v15, v16, v15
	v_mul_f32_e32 v16, v8, v15
	v_fma_f32 v17, -v14, v16, v8
	v_fmac_f32_e32 v16, v17, v15
	v_fma_f32 v8, -v14, v16, v8
	v_div_fmas_f32 v8, v8, v15, v16
	v_div_fixup_f32 v14, v8, v9, 1.0
	v_pk_mul_f32 v[8:9], v[14:15], v[10:11] op_sel_hi:[0,1]
	v_pk_mul_f32 v[10:11], v[14:15], v[12:13] op_sel_hi:[0,1]
	ds_write_b128 v0, v[8:11]
	s_cbranch_scc1 .LBB38_31
; %bb.5:
	s_load_dwordx4 s[4:7], s[6:7], 0x20
	v_lshlrev_b32_e32 v8, 2, v2
	v_cmp_eq_u32_e32 vcc, 0, v2
	v_mul_lo_u32 v9, v1, s8
	v_mov_b32_e32 v10, 0xc61c4000
	v_mov_b32_e32 v11, 0x80
	s_branch .LBB38_7
.LBB38_6:                               ;   in Loop: Header=BB38_7 Depth=1
	s_or_b64 exec, exec, s[0:1]
	s_cmp_lg_u32 s8, s11
	v_add_u32_e32 v1, s20, v1
	s_cbranch_scc0 .LBB38_31
.LBB38_7:                               ; =>This Inner Loop Header: Depth=1
	ds_read_b128 v[12:15], v0
	s_waitcnt lgkmcnt(0)
	v_cmp_gt_f32_e64 s[0:1], v13, v12
	v_cndmask_b32_e64 v12, v12, v13, s[0:1]
	v_cndmask_b32_e64 v13, 0, 1, s[0:1]
	v_cmp_gt_f32_e64 s[0:1], v14, v12
	v_cndmask_b32_e64 v12, v12, v14, s[0:1]
	v_cndmask_b32_e64 v14, v13, 2, s[0:1]
	;; [unrolled: 3-line block ×3, first 2 shown]
	ds_bpermute_b32 v14, v3, v13
	v_or_b32_e32 v12, v8, v12
	ds_bpermute_b32 v15, v3, v12
	s_waitcnt lgkmcnt(1)
	v_cmp_lt_f32_e64 s[16:17], v13, v14
	v_cmp_nlt_f32_e64 s[0:1], v13, v14
	s_and_saveexec_b64 s[18:19], s[0:1]
	s_cbranch_execz .LBB38_9
; %bb.8:                                ;   in Loop: Header=BB38_7 Depth=1
	v_cmp_eq_f32_e64 s[0:1], v13, v14
	s_waitcnt lgkmcnt(0)
	v_cmp_lt_i32_e64 s[2:3], v15, v12
	s_and_b64 s[0:1], s[0:1], s[2:3]
	s_andn2_b64 s[2:3], s[16:17], exec
	s_and_b64 s[0:1], s[0:1], exec
	s_or_b64 s[16:17], s[2:3], s[0:1]
.LBB38_9:                               ;   in Loop: Header=BB38_7 Depth=1
	s_or_b64 exec, exec, s[18:19]
	s_and_saveexec_b64 s[0:1], s[16:17]
	s_cbranch_execz .LBB38_11
; %bb.10:                               ;   in Loop: Header=BB38_7 Depth=1
	v_mov_b32_e32 v13, v14
	s_waitcnt lgkmcnt(0)
	v_mov_b32_e32 v12, v15
.LBB38_11:                              ;   in Loop: Header=BB38_7 Depth=1
	s_or_b64 exec, exec, s[0:1]
	s_waitcnt lgkmcnt(0)
	ds_bpermute_b32 v15, v4, v13
	ds_bpermute_b32 v14, v4, v12
	s_waitcnt lgkmcnt(1)
	v_cmp_lt_f32_e64 s[16:17], v13, v15
	v_cmp_nlt_f32_e64 s[0:1], v13, v15
	s_and_saveexec_b64 s[18:19], s[0:1]
	s_cbranch_execz .LBB38_13
; %bb.12:                               ;   in Loop: Header=BB38_7 Depth=1
	v_cmp_eq_f32_e64 s[0:1], v13, v15
	s_waitcnt lgkmcnt(0)
	v_cmp_lt_i32_e64 s[2:3], v14, v12
	s_and_b64 s[0:1], s[0:1], s[2:3]
	s_andn2_b64 s[2:3], s[16:17], exec
	s_and_b64 s[0:1], s[0:1], exec
	s_or_b64 s[16:17], s[2:3], s[0:1]
.LBB38_13:                              ;   in Loop: Header=BB38_7 Depth=1
	s_or_b64 exec, exec, s[18:19]
	s_and_saveexec_b64 s[0:1], s[16:17]
	s_cbranch_execz .LBB38_15
; %bb.14:                               ;   in Loop: Header=BB38_7 Depth=1
	v_mov_b32_e32 v13, v15
	s_waitcnt lgkmcnt(0)
	v_mov_b32_e32 v12, v14
.LBB38_15:                              ;   in Loop: Header=BB38_7 Depth=1
	s_or_b64 exec, exec, s[0:1]
	ds_bpermute_b32 v15, v5, v13
	s_waitcnt lgkmcnt(1)
	ds_bpermute_b32 v14, v5, v12
	s_waitcnt lgkmcnt(1)
	v_cmp_lt_f32_e64 s[16:17], v13, v15
	v_cmp_nlt_f32_e64 s[0:1], v13, v15
	s_and_saveexec_b64 s[18:19], s[0:1]
	s_cbranch_execz .LBB38_17
; %bb.16:                               ;   in Loop: Header=BB38_7 Depth=1
	v_cmp_eq_f32_e64 s[0:1], v13, v15
	s_waitcnt lgkmcnt(0)
	v_cmp_lt_i32_e64 s[2:3], v14, v12
	s_and_b64 s[0:1], s[0:1], s[2:3]
	s_andn2_b64 s[2:3], s[16:17], exec
	s_and_b64 s[0:1], s[0:1], exec
	s_or_b64 s[16:17], s[2:3], s[0:1]
.LBB38_17:                              ;   in Loop: Header=BB38_7 Depth=1
	s_or_b64 exec, exec, s[18:19]
	s_and_saveexec_b64 s[0:1], s[16:17]
	s_cbranch_execz .LBB38_19
; %bb.18:                               ;   in Loop: Header=BB38_7 Depth=1
	v_mov_b32_e32 v13, v15
	s_waitcnt lgkmcnt(0)
	v_mov_b32_e32 v12, v14
.LBB38_19:                              ;   in Loop: Header=BB38_7 Depth=1
	s_or_b64 exec, exec, s[0:1]
	ds_bpermute_b32 v15, v6, v13
	s_waitcnt lgkmcnt(1)
	ds_bpermute_b32 v14, v6, v12
	s_waitcnt lgkmcnt(1)
	v_cmp_lt_f32_e64 s[16:17], v13, v15
	v_cmp_nlt_f32_e64 s[0:1], v13, v15
	s_and_saveexec_b64 s[18:19], s[0:1]
	s_cbranch_execz .LBB38_21
; %bb.20:                               ;   in Loop: Header=BB38_7 Depth=1
	v_cmp_eq_f32_e64 s[0:1], v13, v15
	s_waitcnt lgkmcnt(0)
	v_cmp_lt_i32_e64 s[2:3], v14, v12
	s_and_b64 s[0:1], s[0:1], s[2:3]
	s_andn2_b64 s[2:3], s[16:17], exec
	s_and_b64 s[0:1], s[0:1], exec
	s_or_b64 s[16:17], s[2:3], s[0:1]
.LBB38_21:                              ;   in Loop: Header=BB38_7 Depth=1
	s_or_b64 exec, exec, s[18:19]
	s_and_saveexec_b64 s[0:1], s[16:17]
	s_cbranch_execz .LBB38_23
; %bb.22:                               ;   in Loop: Header=BB38_7 Depth=1
	v_mov_b32_e32 v13, v15
	s_waitcnt lgkmcnt(0)
	v_mov_b32_e32 v12, v14
.LBB38_23:                              ;   in Loop: Header=BB38_7 Depth=1
	s_or_b64 exec, exec, s[0:1]
	s_waitcnt lgkmcnt(0)
	ds_bpermute_b32 v14, v7, v13
	ds_bpermute_b32 v15, v7, v12
	s_waitcnt lgkmcnt(1)
	v_cmp_lt_f32_e64 s[16:17], v13, v14
	v_cmp_nlt_f32_e64 s[0:1], v13, v14
	s_and_saveexec_b64 s[18:19], s[0:1]
	s_cbranch_execnz .LBB38_29
; %bb.24:                               ;   in Loop: Header=BB38_7 Depth=1
	s_or_b64 exec, exec, s[18:19]
	s_and_saveexec_b64 s[0:1], s[16:17]
	s_cbranch_execnz .LBB38_30
.LBB38_25:                              ;   in Loop: Header=BB38_7 Depth=1
	s_or_b64 exec, exec, s[0:1]
	s_and_saveexec_b64 s[16:17], vcc
	s_cbranch_execz .LBB38_27
.LBB38_26:                              ;   in Loop: Header=BB38_7 Depth=1
	v_add_u32_e32 v14, s11, v9
	s_waitcnt lgkmcnt(0)
	v_ashrrev_i32_e32 v15, 31, v14
	v_cmp_le_i32_e64 s[0:1], s9, v12
	v_cmp_gt_i32_e64 s[2:3], s10, v12
	v_lshlrev_b64 v[14:15], 2, v[14:15]
	s_and_b64 s[2:3], s[0:1], s[2:3]
	v_mov_b32_e32 v17, s13
	v_add_co_u32_e64 v16, s[0:1], s12, v14
	v_addc_co_u32_e64 v17, s[0:1], v17, v15, s[0:1]
	global_store_dword v[16:17], v13, off
	v_subrev_u32_e32 v13, s9, v12
	s_and_b64 s[0:1], s[14:15], s[2:3]
	v_cndmask_b32_e64 v13, v11, v13, s[0:1]
	v_mov_b32_e32 v17, s5
	v_add_co_u32_e64 v16, s[0:1], s4, v14
	v_addc_co_u32_e64 v17, s[0:1], v17, v15, s[0:1]
	global_store_dword v[16:17], v13, off
	v_mov_b32_e32 v13, s7
	v_add_co_u32_e64 v14, s[0:1], s6, v14
	v_addc_co_u32_e64 v15, s[0:1], v13, v15, s[0:1]
	global_store_dword v[14:15], v1, off
.LBB38_27:                              ;   in Loop: Header=BB38_7 Depth=1
	s_or_b64 exec, exec, s[16:17]
	v_ashrrev_i32_e32 v14, 31, v12
	v_lshrrev_b32_e32 v13, 30, v14
	s_waitcnt lgkmcnt(0)
	v_add_u32_e32 v15, v12, v13
	v_ashrrev_i32_e32 v13, 2, v15
	v_ashrrev_i32_e32 v15, 31, v15
	v_lshrrev_b32_e32 v15, 27, v15
	v_add_u32_e32 v15, v13, v15
	s_add_i32 s11, s11, 1
	v_and_b32_e32 v15, 0xffffffe0, v15
	s_cmp_lt_i32 s11, s8
	v_sub_u32_e32 v15, v13, v15
	s_cselect_b64 s[2:3], -1, 0
	v_cmp_eq_u32_e64 s[0:1], v2, v15
	s_and_b64 s[2:3], s[2:3], s[0:1]
	s_and_saveexec_b64 s[0:1], s[2:3]
	s_cbranch_execz .LBB38_6
; %bb.28:                               ;   in Loop: Header=BB38_7 Depth=1
	v_lshrrev_b32_e32 v14, 25, v14
	v_add_u32_e32 v14, v12, v14
	v_lshlrev_b32_e32 v13, 2, v13
	v_ashrrev_i32_e32 v14, 7, v14
	v_sub_u32_e32 v12, v12, v13
	v_lshl_add_u32 v12, v14, 2, v12
	v_lshl_add_u32 v12, v12, 2, v0
	ds_write_b32 v12, v10
	s_branch .LBB38_6
.LBB38_29:                              ;   in Loop: Header=BB38_7 Depth=1
	v_cmp_eq_f32_e64 s[0:1], v13, v14
	s_waitcnt lgkmcnt(0)
	v_cmp_lt_i32_e64 s[2:3], v15, v12
	s_and_b64 s[0:1], s[0:1], s[2:3]
	s_andn2_b64 s[2:3], s[16:17], exec
	s_and_b64 s[0:1], s[0:1], exec
	s_or_b64 s[16:17], s[2:3], s[0:1]
	s_or_b64 exec, exec, s[18:19]
	s_and_saveexec_b64 s[0:1], s[16:17]
	s_cbranch_execz .LBB38_25
.LBB38_30:                              ;   in Loop: Header=BB38_7 Depth=1
	v_mov_b32_e32 v13, v14
	s_waitcnt lgkmcnt(0)
	v_mov_b32_e32 v12, v15
	s_or_b64 exec, exec, s[0:1]
	s_and_saveexec_b64 s[16:17], vcc
	s_cbranch_execnz .LBB38_26
	s_branch .LBB38_27
.LBB38_31:
	s_endpgm
	.section	.rodata,"a",@progbits
	.p2align	6, 0x0
	.amdhsa_kernel _ZN4vllm3moe17topkGatingSoftmaxILi4ELi128ELi4ELi16ELi64EjEEvPKfPKbPfiPT4_Piiii
		.amdhsa_group_segment_fixed_size 4096
		.amdhsa_private_segment_fixed_size 0
		.amdhsa_kernarg_size 60
		.amdhsa_user_sgpr_count 8
		.amdhsa_user_sgpr_private_segment_buffer 1
		.amdhsa_user_sgpr_dispatch_ptr 1
		.amdhsa_user_sgpr_queue_ptr 0
		.amdhsa_user_sgpr_kernarg_segment_ptr 1
		.amdhsa_user_sgpr_dispatch_id 0
		.amdhsa_user_sgpr_flat_scratch_init 0
		.amdhsa_user_sgpr_kernarg_preload_length 0
		.amdhsa_user_sgpr_kernarg_preload_offset 0
		.amdhsa_user_sgpr_private_segment_size 0
		.amdhsa_uses_dynamic_stack 0
		.amdhsa_system_sgpr_private_segment_wavefront_offset 0
		.amdhsa_system_sgpr_workgroup_id_x 1
		.amdhsa_system_sgpr_workgroup_id_y 0
		.amdhsa_system_sgpr_workgroup_id_z 0
		.amdhsa_system_sgpr_workgroup_info 0
		.amdhsa_system_vgpr_workitem_id 2
		.amdhsa_next_free_vgpr 27
		.amdhsa_next_free_sgpr 21
		.amdhsa_accum_offset 28
		.amdhsa_reserve_vcc 1
		.amdhsa_reserve_flat_scratch 0
		.amdhsa_float_round_mode_32 0
		.amdhsa_float_round_mode_16_64 0
		.amdhsa_float_denorm_mode_32 3
		.amdhsa_float_denorm_mode_16_64 3
		.amdhsa_dx10_clamp 1
		.amdhsa_ieee_mode 1
		.amdhsa_fp16_overflow 0
		.amdhsa_tg_split 0
		.amdhsa_exception_fp_ieee_invalid_op 0
		.amdhsa_exception_fp_denorm_src 0
		.amdhsa_exception_fp_ieee_div_zero 0
		.amdhsa_exception_fp_ieee_overflow 0
		.amdhsa_exception_fp_ieee_underflow 0
		.amdhsa_exception_fp_ieee_inexact 0
		.amdhsa_exception_int_div_zero 0
	.end_amdhsa_kernel
	.section	.text._ZN4vllm3moe17topkGatingSoftmaxILi4ELi128ELi4ELi16ELi64EjEEvPKfPKbPfiPT4_Piiii,"axG",@progbits,_ZN4vllm3moe17topkGatingSoftmaxILi4ELi128ELi4ELi16ELi64EjEEvPKfPKbPfiPT4_Piiii,comdat
.Lfunc_end38:
	.size	_ZN4vllm3moe17topkGatingSoftmaxILi4ELi128ELi4ELi16ELi64EjEEvPKfPKbPfiPT4_Piiii, .Lfunc_end38-_ZN4vllm3moe17topkGatingSoftmaxILi4ELi128ELi4ELi16ELi64EjEEvPKfPKbPfiPT4_Piiii
                                        ; -- End function
	.section	.AMDGPU.csdata,"",@progbits
; Kernel info:
; codeLenInByte = 2012
; NumSgprs: 25
; NumVgprs: 27
; NumAgprs: 0
; TotalNumVgprs: 27
; ScratchSize: 0
; MemoryBound: 0
; FloatMode: 240
; IeeeMode: 1
; LDSByteSize: 4096 bytes/workgroup (compile time only)
; SGPRBlocks: 3
; VGPRBlocks: 3
; NumSGPRsForWavesPerEU: 25
; NumVGPRsForWavesPerEU: 27
; AccumOffset: 28
; Occupancy: 8
; WaveLimiterHint : 0
; COMPUTE_PGM_RSRC2:SCRATCH_EN: 0
; COMPUTE_PGM_RSRC2:USER_SGPR: 8
; COMPUTE_PGM_RSRC2:TRAP_HANDLER: 0
; COMPUTE_PGM_RSRC2:TGID_X_EN: 1
; COMPUTE_PGM_RSRC2:TGID_Y_EN: 0
; COMPUTE_PGM_RSRC2:TGID_Z_EN: 0
; COMPUTE_PGM_RSRC2:TIDIG_COMP_CNT: 2
; COMPUTE_PGM_RSRC3_GFX90A:ACCUM_OFFSET: 6
; COMPUTE_PGM_RSRC3_GFX90A:TG_SPLIT: 0
	.section	.text._ZN4vllm3moe17topkGatingSoftmaxILi4ELi128ELi4ELi16ELi32EjEEvPKfPKbPfiPT4_Piiii,"axG",@progbits,_ZN4vllm3moe17topkGatingSoftmaxILi4ELi128ELi4ELi16ELi32EjEEvPKfPKbPfiPT4_Piiii,comdat
	.protected	_ZN4vllm3moe17topkGatingSoftmaxILi4ELi128ELi4ELi16ELi32EjEEvPKfPKbPfiPT4_Piiii ; -- Begin function _ZN4vllm3moe17topkGatingSoftmaxILi4ELi128ELi4ELi16ELi32EjEEvPKfPKbPfiPT4_Piiii
	.globl	_ZN4vllm3moe17topkGatingSoftmaxILi4ELi128ELi4ELi16ELi32EjEEvPKfPKbPfiPT4_Piiii
	.p2align	8
	.type	_ZN4vllm3moe17topkGatingSoftmaxILi4ELi128ELi4ELi16ELi32EjEEvPKfPKbPfiPT4_Piiii,@function
_ZN4vllm3moe17topkGatingSoftmaxILi4ELi128ELi4ELi16ELi32EjEEvPKfPKbPfiPT4_Piiii: ; @_ZN4vllm3moe17topkGatingSoftmaxILi4ELi128ELi4ELi16ELi32EjEEvPKfPKbPfiPT4_Piiii
; %bb.0:
	s_load_dword s20, s[6:7], 0x18
	v_and_b32_e32 v8, 0x3ff, v0
	v_bfe_u32 v9, v0, 10, 10
	s_lshl_b32 s0, s8, 2
	v_lshrrev_b32_e32 v1, 5, v8
	v_add3_u32 v1, s0, v9, v1
	s_waitcnt lgkmcnt(0)
	v_cmp_gt_i32_e32 vcc, s20, v1
	s_and_saveexec_b64 s[0:1], vcc
	s_cbranch_execz .LBB39_31
; %bb.1:
	s_load_dwordx4 s[0:3], s[6:7], 0x0
	s_load_dwordx2 s[12:13], s[6:7], 0x10
	s_waitcnt lgkmcnt(0)
	s_cmp_eq_u64 s[2:3], 0
	s_cbranch_scc1 .LBB39_3
; %bb.2:
	v_ashrrev_i32_e32 v3, 31, v1
	v_mov_b32_e32 v4, s3
	v_add_co_u32_e32 v2, vcc, s2, v1
	v_addc_co_u32_e32 v3, vcc, v4, v3, vcc
	global_load_ubyte v2, v[2:3], off
	s_waitcnt vmcnt(0)
	v_and_b32_e32 v2, 1, v2
	v_cmp_eq_u32_e32 vcc, 1, v2
	s_xor_b64 s[2:3], vcc, -1
	s_orn2_b64 s[14:15], s[2:3], exec
	s_branch .LBB39_4
.LBB39_3:
	s_mov_b64 s[14:15], -1
.LBB39_4:
	v_lshlrev_b32_e32 v2, 7, v1
	v_ashrrev_i32_e32 v3, 31, v2
	v_lshlrev_b64 v[2:3], 2, v[2:3]
	v_mov_b32_e32 v4, s1
	v_add_co_u32_e32 v5, vcc, s0, v2
	v_and_b32_e32 v2, 31, v8
	v_addc_co_u32_e32 v3, vcc, v4, v3, vcc
	v_lshlrev_b32_e32 v4, 4, v2
	v_add_co_u32_e32 v4, vcc, v5, v4
	v_addc_co_u32_e32 v5, vcc, 0, v3, vcc
	global_load_dwordx4 v[10:13], v[4:5], off
	v_mbcnt_lo_u32_b32 v3, -1, 0
	v_mbcnt_hi_u32_b32 v7, -1, v3
	v_and_b32_e32 v3, 0x60, v7
	v_xor_b32_e32 v4, 16, v7
	v_add_u32_e32 v14, 32, v3
	v_cmp_lt_i32_e32 vcc, v4, v14
	v_cndmask_b32_e32 v3, v7, v4, vcc
	v_lshlrev_b32_e32 v3, 2, v3
	v_xor_b32_e32 v17, 1, v7
	s_mov_b32 s0, 0x3fb8aa3b
	s_mov_b32 s1, 0xc2ce8ed0
	;; [unrolled: 1-line block ×3, first 2 shown]
	v_bfe_u32 v0, v0, 20, 10
	s_waitcnt vmcnt(0)
	v_max_f32_e32 v4, v11, v11
	v_max_f32_e32 v5, v10, v10
	;; [unrolled: 1-line block ×3, first 2 shown]
	v_max3_f32 v5, v4, v12, v13
	ds_bpermute_b32 v6, v3, v5
	v_xor_b32_e32 v4, 8, v7
	v_cmp_lt_i32_e32 vcc, v4, v14
	v_cndmask_b32_e32 v4, v7, v4, vcc
	v_lshlrev_b32_e32 v4, 2, v4
	s_waitcnt lgkmcnt(0)
	v_max_f32_e32 v6, v6, v6
	v_max_f32_e32 v6, v5, v6
	ds_bpermute_b32 v15, v4, v6
	v_xor_b32_e32 v5, 4, v7
	v_cmp_lt_i32_e32 vcc, v5, v14
	v_cndmask_b32_e32 v5, v7, v5, vcc
	v_lshlrev_b32_e32 v5, 2, v5
	s_waitcnt lgkmcnt(0)
	v_max_f32_e32 v15, v15, v15
	v_max_f32_e32 v15, v6, v15
	;; [unrolled: 8-line block ×3, first 2 shown]
	ds_bpermute_b32 v16, v6, v15
	v_cmp_lt_i32_e32 vcc, v17, v14
	v_cndmask_b32_e32 v7, v7, v17, vcc
	v_lshlrev_b32_e32 v7, 2, v7
	s_waitcnt lgkmcnt(0)
	v_max_f32_e32 v14, v16, v16
	v_max_f32_e32 v14, v15, v14
	ds_bpermute_b32 v15, v7, v14
	v_mov_b32_e32 v16, 0x7f800000
	s_waitcnt lgkmcnt(0)
	v_max_f32_e32 v15, v15, v15
	v_max_f32_e32 v14, v14, v15
	v_pk_add_f32 v[12:13], v[12:13], v[14:15] op_sel_hi:[1,0] neg_lo:[0,1] neg_hi:[0,1]
	v_pk_add_f32 v[10:11], v[10:11], v[14:15] op_sel_hi:[1,0] neg_lo:[0,1] neg_hi:[0,1]
	v_mul_f32_e32 v14, 0x3fb8aa3b, v13
	v_mul_f32_e32 v15, 0x3fb8aa3b, v12
	v_fma_f32 v19, v13, s0, -v14
	v_rndne_f32_e32 v20, v14
	v_mul_f32_e32 v17, 0x3fb8aa3b, v11
	v_fma_f32 v21, v12, s0, -v15
	v_rndne_f32_e32 v22, v15
	v_fmac_f32_e32 v19, 0x32a5705f, v13
	v_sub_f32_e32 v14, v14, v20
	v_mul_f32_e32 v18, 0x3fb8aa3b, v10
	v_fma_f32 v23, v11, s0, -v17
	v_rndne_f32_e32 v24, v17
	v_fmac_f32_e32 v21, 0x32a5705f, v12
	v_sub_f32_e32 v15, v15, v22
	v_add_f32_e32 v14, v14, v19
	v_fma_f32 v25, v10, s0, -v18
	v_rndne_f32_e32 v26, v18
	v_cvt_i32_f32_e32 v20, v20
	v_fmac_f32_e32 v23, 0x32a5705f, v11
	v_sub_f32_e32 v17, v17, v24
	v_add_f32_e32 v15, v15, v21
	v_exp_f32_e32 v14, v14
	v_cvt_i32_f32_e32 v22, v22
	v_fmac_f32_e32 v25, 0x32a5705f, v10
	v_sub_f32_e32 v18, v18, v26
	v_add_f32_e32 v17, v17, v23
	v_exp_f32_e32 v15, v15
	v_cvt_i32_f32_e32 v24, v24
	v_add_f32_e32 v18, v18, v25
	v_exp_f32_e32 v17, v17
	v_cvt_i32_f32_e32 v26, v26
	v_exp_f32_e32 v18, v18
	v_ldexp_f32 v14, v14, v20
	v_cmp_ngt_f32_e32 vcc, s1, v13
	v_ldexp_f32 v15, v15, v22
	v_cndmask_b32_e32 v14, 0, v14, vcc
	v_cmp_ngt_f32_e32 vcc, s1, v12
	v_ldexp_f32 v17, v17, v24
	v_cndmask_b32_e32 v15, 0, v15, vcc
	;; [unrolled: 3-line block ×3, first 2 shown]
	v_cmp_ngt_f32_e32 vcc, s1, v10
	v_cndmask_b32_e32 v18, 0, v18, vcc
	v_cmp_nlt_f32_e32 vcc, s2, v13
	v_cndmask_b32_e32 v13, v16, v14, vcc
	v_cmp_nlt_f32_e32 vcc, s2, v12
	v_cndmask_b32_e32 v12, v16, v15, vcc
	v_cmp_nlt_f32_e32 vcc, s2, v11
	v_cndmask_b32_e32 v11, v16, v17, vcc
	v_cmp_nlt_f32_e32 vcc, s2, v10
	v_cndmask_b32_e32 v10, v16, v18, vcc
	v_add_f32_e32 v14, v10, v11
	v_add_f32_e32 v14, v14, v12
	;; [unrolled: 1-line block ×3, first 2 shown]
	ds_bpermute_b32 v15, v3, v14
	s_load_dwordx4 s[8:11], s[6:7], 0x30
	s_load_dwordx2 s[0:1], s[4:5], 0x4
	s_waitcnt lgkmcnt(0)
	s_mov_b32 s11, 0
	v_add_f32_e32 v14, v14, v15
	ds_bpermute_b32 v15, v4, v14
	s_lshr_b32 s0, s0, 16
	v_mul_u32_u24_e32 v9, s1, v9
	s_mul_i32 s0, s0, s1
	v_mad_u32_u24 v8, s0, v8, v9
	s_waitcnt lgkmcnt(0)
	v_add_f32_e32 v14, v14, v15
	ds_bpermute_b32 v15, v5, v14
	v_add_lshl_u32 v0, v8, v0, 4
	s_cmp_lt_i32 s8, 1
	s_waitcnt lgkmcnt(0)
	v_add_f32_e32 v14, v14, v15
	ds_bpermute_b32 v15, v6, v14
	s_waitcnt lgkmcnt(0)
	v_add_f32_e32 v14, v14, v15
	ds_bpermute_b32 v15, v7, v14
	s_waitcnt lgkmcnt(0)
	v_add_f32_e32 v9, v14, v15
	v_div_scale_f32 v14, s[0:1], v9, v9, 1.0
	v_rcp_f32_e32 v15, v14
	v_div_scale_f32 v8, vcc, 1.0, v9, 1.0
	v_fma_f32 v16, -v14, v15, 1.0
	v_fmac_f32_e32 v15, v16, v15
	v_mul_f32_e32 v16, v8, v15
	v_fma_f32 v17, -v14, v16, v8
	v_fmac_f32_e32 v16, v17, v15
	v_fma_f32 v8, -v14, v16, v8
	v_div_fmas_f32 v8, v8, v15, v16
	v_div_fixup_f32 v14, v8, v9, 1.0
	v_pk_mul_f32 v[8:9], v[14:15], v[10:11] op_sel_hi:[0,1]
	v_pk_mul_f32 v[10:11], v[14:15], v[12:13] op_sel_hi:[0,1]
	ds_write_b128 v0, v[8:11]
	s_cbranch_scc1 .LBB39_31
; %bb.5:
	s_load_dwordx4 s[4:7], s[6:7], 0x20
	v_lshlrev_b32_e32 v8, 2, v2
	v_cmp_eq_u32_e32 vcc, 0, v2
	v_mul_lo_u32 v9, v1, s8
	v_mov_b32_e32 v10, 0xc61c4000
	v_mov_b32_e32 v11, 0x80
	s_branch .LBB39_7
.LBB39_6:                               ;   in Loop: Header=BB39_7 Depth=1
	s_or_b64 exec, exec, s[0:1]
	s_cmp_lg_u32 s8, s11
	v_add_u32_e32 v1, s20, v1
	s_cbranch_scc0 .LBB39_31
.LBB39_7:                               ; =>This Inner Loop Header: Depth=1
	ds_read_b128 v[12:15], v0
	s_waitcnt lgkmcnt(0)
	v_cmp_gt_f32_e64 s[0:1], v13, v12
	v_cndmask_b32_e64 v12, v12, v13, s[0:1]
	v_cndmask_b32_e64 v13, 0, 1, s[0:1]
	v_cmp_gt_f32_e64 s[0:1], v14, v12
	v_cndmask_b32_e64 v12, v12, v14, s[0:1]
	v_cndmask_b32_e64 v14, v13, 2, s[0:1]
	;; [unrolled: 3-line block ×3, first 2 shown]
	ds_bpermute_b32 v14, v3, v13
	v_or_b32_e32 v12, v8, v12
	ds_bpermute_b32 v15, v3, v12
	s_waitcnt lgkmcnt(1)
	v_cmp_lt_f32_e64 s[16:17], v13, v14
	v_cmp_nlt_f32_e64 s[0:1], v13, v14
	s_and_saveexec_b64 s[18:19], s[0:1]
	s_cbranch_execz .LBB39_9
; %bb.8:                                ;   in Loop: Header=BB39_7 Depth=1
	v_cmp_eq_f32_e64 s[0:1], v13, v14
	s_waitcnt lgkmcnt(0)
	v_cmp_lt_i32_e64 s[2:3], v15, v12
	s_and_b64 s[0:1], s[0:1], s[2:3]
	s_andn2_b64 s[2:3], s[16:17], exec
	s_and_b64 s[0:1], s[0:1], exec
	s_or_b64 s[16:17], s[2:3], s[0:1]
.LBB39_9:                               ;   in Loop: Header=BB39_7 Depth=1
	s_or_b64 exec, exec, s[18:19]
	s_and_saveexec_b64 s[0:1], s[16:17]
	s_cbranch_execz .LBB39_11
; %bb.10:                               ;   in Loop: Header=BB39_7 Depth=1
	v_mov_b32_e32 v13, v14
	s_waitcnt lgkmcnt(0)
	v_mov_b32_e32 v12, v15
.LBB39_11:                              ;   in Loop: Header=BB39_7 Depth=1
	s_or_b64 exec, exec, s[0:1]
	s_waitcnt lgkmcnt(0)
	ds_bpermute_b32 v15, v4, v13
	ds_bpermute_b32 v14, v4, v12
	s_waitcnt lgkmcnt(1)
	v_cmp_lt_f32_e64 s[16:17], v13, v15
	v_cmp_nlt_f32_e64 s[0:1], v13, v15
	s_and_saveexec_b64 s[18:19], s[0:1]
	s_cbranch_execz .LBB39_13
; %bb.12:                               ;   in Loop: Header=BB39_7 Depth=1
	v_cmp_eq_f32_e64 s[0:1], v13, v15
	s_waitcnt lgkmcnt(0)
	v_cmp_lt_i32_e64 s[2:3], v14, v12
	s_and_b64 s[0:1], s[0:1], s[2:3]
	s_andn2_b64 s[2:3], s[16:17], exec
	s_and_b64 s[0:1], s[0:1], exec
	s_or_b64 s[16:17], s[2:3], s[0:1]
.LBB39_13:                              ;   in Loop: Header=BB39_7 Depth=1
	s_or_b64 exec, exec, s[18:19]
	s_and_saveexec_b64 s[0:1], s[16:17]
	s_cbranch_execz .LBB39_15
; %bb.14:                               ;   in Loop: Header=BB39_7 Depth=1
	v_mov_b32_e32 v13, v15
	s_waitcnt lgkmcnt(0)
	v_mov_b32_e32 v12, v14
.LBB39_15:                              ;   in Loop: Header=BB39_7 Depth=1
	s_or_b64 exec, exec, s[0:1]
	ds_bpermute_b32 v15, v5, v13
	s_waitcnt lgkmcnt(1)
	ds_bpermute_b32 v14, v5, v12
	s_waitcnt lgkmcnt(1)
	v_cmp_lt_f32_e64 s[16:17], v13, v15
	v_cmp_nlt_f32_e64 s[0:1], v13, v15
	s_and_saveexec_b64 s[18:19], s[0:1]
	s_cbranch_execz .LBB39_17
; %bb.16:                               ;   in Loop: Header=BB39_7 Depth=1
	v_cmp_eq_f32_e64 s[0:1], v13, v15
	s_waitcnt lgkmcnt(0)
	v_cmp_lt_i32_e64 s[2:3], v14, v12
	s_and_b64 s[0:1], s[0:1], s[2:3]
	s_andn2_b64 s[2:3], s[16:17], exec
	s_and_b64 s[0:1], s[0:1], exec
	s_or_b64 s[16:17], s[2:3], s[0:1]
.LBB39_17:                              ;   in Loop: Header=BB39_7 Depth=1
	s_or_b64 exec, exec, s[18:19]
	s_and_saveexec_b64 s[0:1], s[16:17]
	s_cbranch_execz .LBB39_19
; %bb.18:                               ;   in Loop: Header=BB39_7 Depth=1
	v_mov_b32_e32 v13, v15
	s_waitcnt lgkmcnt(0)
	v_mov_b32_e32 v12, v14
.LBB39_19:                              ;   in Loop: Header=BB39_7 Depth=1
	s_or_b64 exec, exec, s[0:1]
	ds_bpermute_b32 v15, v6, v13
	s_waitcnt lgkmcnt(1)
	ds_bpermute_b32 v14, v6, v12
	s_waitcnt lgkmcnt(1)
	v_cmp_lt_f32_e64 s[16:17], v13, v15
	v_cmp_nlt_f32_e64 s[0:1], v13, v15
	s_and_saveexec_b64 s[18:19], s[0:1]
	s_cbranch_execz .LBB39_21
; %bb.20:                               ;   in Loop: Header=BB39_7 Depth=1
	v_cmp_eq_f32_e64 s[0:1], v13, v15
	s_waitcnt lgkmcnt(0)
	v_cmp_lt_i32_e64 s[2:3], v14, v12
	s_and_b64 s[0:1], s[0:1], s[2:3]
	s_andn2_b64 s[2:3], s[16:17], exec
	s_and_b64 s[0:1], s[0:1], exec
	s_or_b64 s[16:17], s[2:3], s[0:1]
.LBB39_21:                              ;   in Loop: Header=BB39_7 Depth=1
	s_or_b64 exec, exec, s[18:19]
	s_and_saveexec_b64 s[0:1], s[16:17]
	s_cbranch_execz .LBB39_23
; %bb.22:                               ;   in Loop: Header=BB39_7 Depth=1
	v_mov_b32_e32 v13, v15
	s_waitcnt lgkmcnt(0)
	v_mov_b32_e32 v12, v14
.LBB39_23:                              ;   in Loop: Header=BB39_7 Depth=1
	s_or_b64 exec, exec, s[0:1]
	s_waitcnt lgkmcnt(0)
	ds_bpermute_b32 v14, v7, v13
	ds_bpermute_b32 v15, v7, v12
	s_waitcnt lgkmcnt(1)
	v_cmp_lt_f32_e64 s[16:17], v13, v14
	v_cmp_nlt_f32_e64 s[0:1], v13, v14
	s_and_saveexec_b64 s[18:19], s[0:1]
	s_cbranch_execnz .LBB39_29
; %bb.24:                               ;   in Loop: Header=BB39_7 Depth=1
	s_or_b64 exec, exec, s[18:19]
	s_and_saveexec_b64 s[0:1], s[16:17]
	s_cbranch_execnz .LBB39_30
.LBB39_25:                              ;   in Loop: Header=BB39_7 Depth=1
	s_or_b64 exec, exec, s[0:1]
	s_and_saveexec_b64 s[16:17], vcc
	s_cbranch_execz .LBB39_27
.LBB39_26:                              ;   in Loop: Header=BB39_7 Depth=1
	v_add_u32_e32 v14, s11, v9
	s_waitcnt lgkmcnt(0)
	v_ashrrev_i32_e32 v15, 31, v14
	v_cmp_le_i32_e64 s[0:1], s9, v12
	v_cmp_gt_i32_e64 s[2:3], s10, v12
	v_lshlrev_b64 v[14:15], 2, v[14:15]
	s_and_b64 s[2:3], s[0:1], s[2:3]
	v_mov_b32_e32 v17, s13
	v_add_co_u32_e64 v16, s[0:1], s12, v14
	v_addc_co_u32_e64 v17, s[0:1], v17, v15, s[0:1]
	global_store_dword v[16:17], v13, off
	v_subrev_u32_e32 v13, s9, v12
	s_and_b64 s[0:1], s[14:15], s[2:3]
	v_cndmask_b32_e64 v13, v11, v13, s[0:1]
	v_mov_b32_e32 v17, s5
	v_add_co_u32_e64 v16, s[0:1], s4, v14
	v_addc_co_u32_e64 v17, s[0:1], v17, v15, s[0:1]
	global_store_dword v[16:17], v13, off
	v_mov_b32_e32 v13, s7
	v_add_co_u32_e64 v14, s[0:1], s6, v14
	v_addc_co_u32_e64 v15, s[0:1], v13, v15, s[0:1]
	global_store_dword v[14:15], v1, off
.LBB39_27:                              ;   in Loop: Header=BB39_7 Depth=1
	s_or_b64 exec, exec, s[16:17]
	v_ashrrev_i32_e32 v14, 31, v12
	v_lshrrev_b32_e32 v13, 30, v14
	s_waitcnt lgkmcnt(0)
	v_add_u32_e32 v15, v12, v13
	v_ashrrev_i32_e32 v13, 2, v15
	v_ashrrev_i32_e32 v15, 31, v15
	v_lshrrev_b32_e32 v15, 27, v15
	v_add_u32_e32 v15, v13, v15
	s_add_i32 s11, s11, 1
	v_and_b32_e32 v15, 0xffffffe0, v15
	s_cmp_lt_i32 s11, s8
	v_sub_u32_e32 v15, v13, v15
	s_cselect_b64 s[2:3], -1, 0
	v_cmp_eq_u32_e64 s[0:1], v2, v15
	s_and_b64 s[2:3], s[2:3], s[0:1]
	s_and_saveexec_b64 s[0:1], s[2:3]
	s_cbranch_execz .LBB39_6
; %bb.28:                               ;   in Loop: Header=BB39_7 Depth=1
	v_lshrrev_b32_e32 v14, 25, v14
	v_add_u32_e32 v14, v12, v14
	v_lshlrev_b32_e32 v13, 2, v13
	v_ashrrev_i32_e32 v14, 7, v14
	v_sub_u32_e32 v12, v12, v13
	v_lshl_add_u32 v12, v14, 2, v12
	v_lshl_add_u32 v12, v12, 2, v0
	ds_write_b32 v12, v10
	s_branch .LBB39_6
.LBB39_29:                              ;   in Loop: Header=BB39_7 Depth=1
	v_cmp_eq_f32_e64 s[0:1], v13, v14
	s_waitcnt lgkmcnt(0)
	v_cmp_lt_i32_e64 s[2:3], v15, v12
	s_and_b64 s[0:1], s[0:1], s[2:3]
	s_andn2_b64 s[2:3], s[16:17], exec
	s_and_b64 s[0:1], s[0:1], exec
	s_or_b64 s[16:17], s[2:3], s[0:1]
	s_or_b64 exec, exec, s[18:19]
	s_and_saveexec_b64 s[0:1], s[16:17]
	s_cbranch_execz .LBB39_25
.LBB39_30:                              ;   in Loop: Header=BB39_7 Depth=1
	v_mov_b32_e32 v13, v14
	s_waitcnt lgkmcnt(0)
	v_mov_b32_e32 v12, v15
	s_or_b64 exec, exec, s[0:1]
	s_and_saveexec_b64 s[16:17], vcc
	s_cbranch_execnz .LBB39_26
	s_branch .LBB39_27
.LBB39_31:
	s_endpgm
	.section	.rodata,"a",@progbits
	.p2align	6, 0x0
	.amdhsa_kernel _ZN4vllm3moe17topkGatingSoftmaxILi4ELi128ELi4ELi16ELi32EjEEvPKfPKbPfiPT4_Piiii
		.amdhsa_group_segment_fixed_size 2048
		.amdhsa_private_segment_fixed_size 0
		.amdhsa_kernarg_size 60
		.amdhsa_user_sgpr_count 8
		.amdhsa_user_sgpr_private_segment_buffer 1
		.amdhsa_user_sgpr_dispatch_ptr 1
		.amdhsa_user_sgpr_queue_ptr 0
		.amdhsa_user_sgpr_kernarg_segment_ptr 1
		.amdhsa_user_sgpr_dispatch_id 0
		.amdhsa_user_sgpr_flat_scratch_init 0
		.amdhsa_user_sgpr_kernarg_preload_length 0
		.amdhsa_user_sgpr_kernarg_preload_offset 0
		.amdhsa_user_sgpr_private_segment_size 0
		.amdhsa_uses_dynamic_stack 0
		.amdhsa_system_sgpr_private_segment_wavefront_offset 0
		.amdhsa_system_sgpr_workgroup_id_x 1
		.amdhsa_system_sgpr_workgroup_id_y 0
		.amdhsa_system_sgpr_workgroup_id_z 0
		.amdhsa_system_sgpr_workgroup_info 0
		.amdhsa_system_vgpr_workitem_id 2
		.amdhsa_next_free_vgpr 27
		.amdhsa_next_free_sgpr 21
		.amdhsa_accum_offset 28
		.amdhsa_reserve_vcc 1
		.amdhsa_reserve_flat_scratch 0
		.amdhsa_float_round_mode_32 0
		.amdhsa_float_round_mode_16_64 0
		.amdhsa_float_denorm_mode_32 3
		.amdhsa_float_denorm_mode_16_64 3
		.amdhsa_dx10_clamp 1
		.amdhsa_ieee_mode 1
		.amdhsa_fp16_overflow 0
		.amdhsa_tg_split 0
		.amdhsa_exception_fp_ieee_invalid_op 0
		.amdhsa_exception_fp_denorm_src 0
		.amdhsa_exception_fp_ieee_div_zero 0
		.amdhsa_exception_fp_ieee_overflow 0
		.amdhsa_exception_fp_ieee_underflow 0
		.amdhsa_exception_fp_ieee_inexact 0
		.amdhsa_exception_int_div_zero 0
	.end_amdhsa_kernel
	.section	.text._ZN4vllm3moe17topkGatingSoftmaxILi4ELi128ELi4ELi16ELi32EjEEvPKfPKbPfiPT4_Piiii,"axG",@progbits,_ZN4vllm3moe17topkGatingSoftmaxILi4ELi128ELi4ELi16ELi32EjEEvPKfPKbPfiPT4_Piiii,comdat
.Lfunc_end39:
	.size	_ZN4vllm3moe17topkGatingSoftmaxILi4ELi128ELi4ELi16ELi32EjEEvPKfPKbPfiPT4_Piiii, .Lfunc_end39-_ZN4vllm3moe17topkGatingSoftmaxILi4ELi128ELi4ELi16ELi32EjEEvPKfPKbPfiPT4_Piiii
                                        ; -- End function
	.section	.AMDGPU.csdata,"",@progbits
; Kernel info:
; codeLenInByte = 2004
; NumSgprs: 25
; NumVgprs: 27
; NumAgprs: 0
; TotalNumVgprs: 27
; ScratchSize: 0
; MemoryBound: 0
; FloatMode: 240
; IeeeMode: 1
; LDSByteSize: 2048 bytes/workgroup (compile time only)
; SGPRBlocks: 3
; VGPRBlocks: 3
; NumSGPRsForWavesPerEU: 25
; NumVGPRsForWavesPerEU: 27
; AccumOffset: 28
; Occupancy: 8
; WaveLimiterHint : 0
; COMPUTE_PGM_RSRC2:SCRATCH_EN: 0
; COMPUTE_PGM_RSRC2:USER_SGPR: 8
; COMPUTE_PGM_RSRC2:TRAP_HANDLER: 0
; COMPUTE_PGM_RSRC2:TGID_X_EN: 1
; COMPUTE_PGM_RSRC2:TGID_Y_EN: 0
; COMPUTE_PGM_RSRC2:TGID_Z_EN: 0
; COMPUTE_PGM_RSRC2:TIDIG_COMP_CNT: 2
; COMPUTE_PGM_RSRC3_GFX90A:ACCUM_OFFSET: 6
; COMPUTE_PGM_RSRC3_GFX90A:TG_SPLIT: 0
	.section	.text._ZN4vllm3moe17topkGatingSoftmaxILi4ELi256ELi4ELi16ELi64EjEEvPKfPKbPfiPT4_Piiii,"axG",@progbits,_ZN4vllm3moe17topkGatingSoftmaxILi4ELi256ELi4ELi16ELi64EjEEvPKfPKbPfiPT4_Piiii,comdat
	.protected	_ZN4vllm3moe17topkGatingSoftmaxILi4ELi256ELi4ELi16ELi64EjEEvPKfPKbPfiPT4_Piiii ; -- Begin function _ZN4vllm3moe17topkGatingSoftmaxILi4ELi256ELi4ELi16ELi64EjEEvPKfPKbPfiPT4_Piiii
	.globl	_ZN4vllm3moe17topkGatingSoftmaxILi4ELi256ELi4ELi16ELi64EjEEvPKfPKbPfiPT4_Piiii
	.p2align	8
	.type	_ZN4vllm3moe17topkGatingSoftmaxILi4ELi256ELi4ELi16ELi64EjEEvPKfPKbPfiPT4_Piiii,@function
_ZN4vllm3moe17topkGatingSoftmaxILi4ELi256ELi4ELi16ELi64EjEEvPKfPKbPfiPT4_Piiii: ; @_ZN4vllm3moe17topkGatingSoftmaxILi4ELi256ELi4ELi16ELi64EjEEvPKfPKbPfiPT4_Piiii
; %bb.0:
	s_load_dword s20, s[6:7], 0x18
	v_and_b32_e32 v9, 0x3ff, v0
	v_bfe_u32 v10, v0, 10, 10
	s_lshl_b32 s0, s8, 2
	v_lshrrev_b32_e32 v1, 6, v9
	v_add3_u32 v1, s0, v10, v1
	s_waitcnt lgkmcnt(0)
	v_cmp_gt_i32_e32 vcc, s20, v1
	s_and_saveexec_b64 s[0:1], vcc
	s_cbranch_execz .LBB40_35
; %bb.1:
	s_load_dwordx4 s[0:3], s[6:7], 0x0
	s_load_dwordx2 s[12:13], s[6:7], 0x10
	s_waitcnt lgkmcnt(0)
	s_cmp_eq_u64 s[2:3], 0
	s_cbranch_scc1 .LBB40_3
; %bb.2:
	v_ashrrev_i32_e32 v3, 31, v1
	v_mov_b32_e32 v4, s3
	v_add_co_u32_e32 v2, vcc, s2, v1
	v_addc_co_u32_e32 v3, vcc, v4, v3, vcc
	global_load_ubyte v2, v[2:3], off
	s_waitcnt vmcnt(0)
	v_and_b32_e32 v2, 1, v2
	v_cmp_eq_u32_e32 vcc, 1, v2
	s_xor_b64 s[2:3], vcc, -1
	s_orn2_b64 s[14:15], s[2:3], exec
	s_branch .LBB40_4
.LBB40_3:
	s_mov_b64 s[14:15], -1
.LBB40_4:
	v_lshlrev_b32_e32 v2, 8, v1
	v_ashrrev_i32_e32 v3, 31, v2
	v_lshlrev_b64 v[2:3], 2, v[2:3]
	v_mov_b32_e32 v4, s1
	v_add_co_u32_e32 v5, vcc, s0, v2
	v_and_b32_e32 v2, 63, v9
	v_addc_co_u32_e32 v3, vcc, v4, v3, vcc
	v_lshlrev_b32_e32 v4, 4, v2
	v_add_co_u32_e32 v4, vcc, v5, v4
	v_addc_co_u32_e32 v5, vcc, 0, v3, vcc
	global_load_dwordx4 v[12:15], v[4:5], off
	v_mbcnt_lo_u32_b32 v3, -1, 0
	v_mbcnt_hi_u32_b32 v8, -1, v3
	v_and_b32_e32 v3, 64, v8
	v_xor_b32_e32 v4, 32, v8
	v_add_u32_e32 v11, 64, v3
	v_cmp_lt_i32_e32 vcc, v4, v11
	v_cndmask_b32_e32 v3, v8, v4, vcc
	v_lshlrev_b32_e32 v3, 2, v3
	v_xor_b32_e32 v18, 1, v8
	s_mov_b32 s0, 0x3fb8aa3b
	s_mov_b32 s1, 0xc2ce8ed0
	;; [unrolled: 1-line block ×3, first 2 shown]
	v_bfe_u32 v0, v0, 20, 10
	s_waitcnt vmcnt(0)
	v_max_f32_e32 v4, v13, v13
	v_max_f32_e32 v5, v12, v12
	;; [unrolled: 1-line block ×3, first 2 shown]
	v_max3_f32 v5, v4, v14, v15
	ds_bpermute_b32 v6, v3, v5
	v_xor_b32_e32 v4, 16, v8
	v_cmp_lt_i32_e32 vcc, v4, v11
	v_cndmask_b32_e32 v4, v8, v4, vcc
	v_lshlrev_b32_e32 v4, 2, v4
	s_waitcnt lgkmcnt(0)
	v_max_f32_e32 v6, v6, v6
	v_max_f32_e32 v6, v5, v6
	ds_bpermute_b32 v7, v4, v6
	v_xor_b32_e32 v5, 8, v8
	v_cmp_lt_i32_e32 vcc, v5, v11
	v_cndmask_b32_e32 v5, v8, v5, vcc
	v_lshlrev_b32_e32 v5, 2, v5
	s_waitcnt lgkmcnt(0)
	v_max_f32_e32 v7, v7, v7
	v_max_f32_e32 v7, v6, v7
	;; [unrolled: 8-line block ×4, first 2 shown]
	ds_bpermute_b32 v17, v7, v16
	v_cmp_lt_i32_e32 vcc, v18, v11
	v_cndmask_b32_e32 v8, v8, v18, vcc
	v_lshlrev_b32_e32 v8, 2, v8
	s_waitcnt lgkmcnt(0)
	v_max_f32_e32 v11, v17, v17
	v_max_f32_e32 v11, v16, v11
	ds_bpermute_b32 v16, v8, v11
	v_mov_b32_e32 v17, 0x7f800000
	s_waitcnt lgkmcnt(0)
	v_max_f32_e32 v16, v16, v16
	v_max_f32_e32 v16, v11, v16
	v_pk_add_f32 v[14:15], v[14:15], v[16:17] op_sel_hi:[1,0] neg_lo:[0,1] neg_hi:[0,1]
	v_mul_f32_e32 v11, 0x3fb8aa3b, v15
	v_pk_add_f32 v[12:13], v[12:13], v[16:17] op_sel_hi:[1,0] neg_lo:[0,1] neg_hi:[0,1]
	v_mul_f32_e32 v16, 0x3fb8aa3b, v14
	v_fma_f32 v20, v15, s0, -v11
	v_rndne_f32_e32 v21, v11
	v_mul_f32_e32 v18, 0x3fb8aa3b, v13
	v_fma_f32 v22, v14, s0, -v16
	v_rndne_f32_e32 v23, v16
	v_fmac_f32_e32 v20, 0x32a5705f, v15
	v_sub_f32_e32 v11, v11, v21
	v_mul_f32_e32 v19, 0x3fb8aa3b, v12
	v_fma_f32 v24, v13, s0, -v18
	v_rndne_f32_e32 v25, v18
	v_fmac_f32_e32 v22, 0x32a5705f, v14
	v_sub_f32_e32 v16, v16, v23
	v_add_f32_e32 v11, v11, v20
	v_fma_f32 v26, v12, s0, -v19
	v_rndne_f32_e32 v27, v19
	v_cvt_i32_f32_e32 v21, v21
	v_fmac_f32_e32 v24, 0x32a5705f, v13
	v_sub_f32_e32 v18, v18, v25
	v_add_f32_e32 v16, v16, v22
	v_exp_f32_e32 v11, v11
	v_cvt_i32_f32_e32 v23, v23
	v_fmac_f32_e32 v26, 0x32a5705f, v12
	v_sub_f32_e32 v19, v19, v27
	v_add_f32_e32 v18, v18, v24
	v_exp_f32_e32 v16, v16
	v_cvt_i32_f32_e32 v25, v25
	v_add_f32_e32 v19, v19, v26
	v_exp_f32_e32 v18, v18
	v_cvt_i32_f32_e32 v27, v27
	v_exp_f32_e32 v19, v19
	v_ldexp_f32 v11, v11, v21
	v_cmp_ngt_f32_e32 vcc, s1, v15
	v_ldexp_f32 v16, v16, v23
	v_cndmask_b32_e32 v11, 0, v11, vcc
	v_cmp_ngt_f32_e32 vcc, s1, v14
	v_ldexp_f32 v18, v18, v25
	v_cndmask_b32_e32 v16, 0, v16, vcc
	v_cmp_ngt_f32_e32 vcc, s1, v13
	v_ldexp_f32 v19, v19, v27
	v_cndmask_b32_e32 v18, 0, v18, vcc
	v_cmp_ngt_f32_e32 vcc, s1, v12
	v_cndmask_b32_e32 v19, 0, v19, vcc
	v_cmp_nlt_f32_e32 vcc, s2, v15
	v_cndmask_b32_e32 v15, v17, v11, vcc
	v_cmp_nlt_f32_e32 vcc, s2, v14
	;; [unrolled: 2-line block ×4, first 2 shown]
	v_cndmask_b32_e32 v12, v17, v19, vcc
	v_add_f32_e32 v11, v12, v13
	v_add_f32_e32 v11, v11, v14
	;; [unrolled: 1-line block ×3, first 2 shown]
	ds_bpermute_b32 v16, v3, v11
	s_load_dwordx4 s[8:11], s[6:7], 0x30
	s_load_dwordx2 s[0:1], s[4:5], 0x4
	s_waitcnt lgkmcnt(0)
	s_mov_b32 s11, 0
	v_add_f32_e32 v11, v11, v16
	ds_bpermute_b32 v16, v4, v11
	s_lshr_b32 s0, s0, 16
	s_mul_i32 s0, s0, s1
	v_mul_lo_u32 v9, s0, v9
	v_mad_u32_u24 v9, v10, s1, v9
	s_waitcnt lgkmcnt(0)
	v_add_f32_e32 v11, v11, v16
	ds_bpermute_b32 v16, v5, v11
	v_add_lshl_u32 v0, v9, v0, 4
	s_cmp_lt_i32 s8, 1
	s_waitcnt lgkmcnt(0)
	v_add_f32_e32 v11, v11, v16
	ds_bpermute_b32 v16, v6, v11
	s_waitcnt lgkmcnt(0)
	v_add_f32_e32 v11, v11, v16
	ds_bpermute_b32 v16, v7, v11
	;; [unrolled: 3-line block ×3, first 2 shown]
	s_waitcnt lgkmcnt(0)
	v_add_f32_e32 v10, v11, v16
	v_div_scale_f32 v11, s[0:1], v10, v10, 1.0
	v_rcp_f32_e32 v16, v11
	v_div_scale_f32 v9, vcc, 1.0, v10, 1.0
	v_fma_f32 v17, -v11, v16, 1.0
	v_fmac_f32_e32 v16, v17, v16
	v_mul_f32_e32 v17, v9, v16
	v_fma_f32 v18, -v11, v17, v9
	v_fmac_f32_e32 v17, v18, v16
	v_fma_f32 v9, -v11, v17, v9
	v_div_fmas_f32 v9, v9, v16, v17
	v_div_fixup_f32 v16, v9, v10, 1.0
	v_pk_mul_f32 v[10:11], v[16:17], v[12:13] op_sel_hi:[0,1]
	v_pk_mul_f32 v[12:13], v[16:17], v[14:15] op_sel_hi:[0,1]
	ds_write_b128 v0, v[10:13]
	s_cbranch_scc1 .LBB40_35
; %bb.5:
	s_load_dwordx4 s[4:7], s[6:7], 0x20
	v_lshlrev_b32_e32 v9, 2, v2
	v_cmp_eq_u32_e32 vcc, 0, v2
	v_mul_lo_u32 v10, v1, s8
	v_mov_b32_e32 v11, 0xc61c4000
	v_mov_b32_e32 v12, 0x100
	s_branch .LBB40_7
.LBB40_6:                               ;   in Loop: Header=BB40_7 Depth=1
	s_or_b64 exec, exec, s[0:1]
	s_cmp_lg_u32 s8, s11
	v_add_u32_e32 v1, s20, v1
	s_cbranch_scc0 .LBB40_35
.LBB40_7:                               ; =>This Inner Loop Header: Depth=1
	ds_read_b128 v[14:17], v0
	s_waitcnt lgkmcnt(0)
	v_cmp_gt_f32_e64 s[0:1], v15, v14
	v_cndmask_b32_e64 v13, v14, v15, s[0:1]
	v_cndmask_b32_e64 v14, 0, 1, s[0:1]
	v_cmp_gt_f32_e64 s[0:1], v16, v13
	v_cndmask_b32_e64 v13, v13, v16, s[0:1]
	v_cndmask_b32_e64 v15, v14, 2, s[0:1]
	;; [unrolled: 3-line block ×3, first 2 shown]
	ds_bpermute_b32 v15, v3, v14
	v_or_b32_e32 v13, v9, v13
	ds_bpermute_b32 v16, v3, v13
	s_waitcnt lgkmcnt(1)
	v_cmp_lt_f32_e64 s[16:17], v14, v15
	v_cmp_nlt_f32_e64 s[0:1], v14, v15
	s_and_saveexec_b64 s[18:19], s[0:1]
	s_cbranch_execz .LBB40_9
; %bb.8:                                ;   in Loop: Header=BB40_7 Depth=1
	v_cmp_eq_f32_e64 s[0:1], v14, v15
	s_waitcnt lgkmcnt(0)
	v_cmp_lt_i32_e64 s[2:3], v16, v13
	s_and_b64 s[0:1], s[0:1], s[2:3]
	s_andn2_b64 s[2:3], s[16:17], exec
	s_and_b64 s[0:1], s[0:1], exec
	s_or_b64 s[16:17], s[2:3], s[0:1]
.LBB40_9:                               ;   in Loop: Header=BB40_7 Depth=1
	s_or_b64 exec, exec, s[18:19]
	s_and_saveexec_b64 s[0:1], s[16:17]
	s_cbranch_execz .LBB40_11
; %bb.10:                               ;   in Loop: Header=BB40_7 Depth=1
	v_mov_b32_e32 v14, v15
	s_waitcnt lgkmcnt(0)
	v_mov_b32_e32 v13, v16
.LBB40_11:                              ;   in Loop: Header=BB40_7 Depth=1
	s_or_b64 exec, exec, s[0:1]
	s_waitcnt lgkmcnt(0)
	ds_bpermute_b32 v16, v4, v14
	ds_bpermute_b32 v15, v4, v13
	s_waitcnt lgkmcnt(1)
	v_cmp_lt_f32_e64 s[16:17], v14, v16
	v_cmp_nlt_f32_e64 s[0:1], v14, v16
	s_and_saveexec_b64 s[18:19], s[0:1]
	s_cbranch_execz .LBB40_13
; %bb.12:                               ;   in Loop: Header=BB40_7 Depth=1
	v_cmp_eq_f32_e64 s[0:1], v14, v16
	s_waitcnt lgkmcnt(0)
	v_cmp_lt_i32_e64 s[2:3], v15, v13
	s_and_b64 s[0:1], s[0:1], s[2:3]
	s_andn2_b64 s[2:3], s[16:17], exec
	s_and_b64 s[0:1], s[0:1], exec
	s_or_b64 s[16:17], s[2:3], s[0:1]
.LBB40_13:                              ;   in Loop: Header=BB40_7 Depth=1
	s_or_b64 exec, exec, s[18:19]
	s_and_saveexec_b64 s[0:1], s[16:17]
	s_cbranch_execz .LBB40_15
; %bb.14:                               ;   in Loop: Header=BB40_7 Depth=1
	v_mov_b32_e32 v14, v16
	s_waitcnt lgkmcnt(0)
	v_mov_b32_e32 v13, v15
.LBB40_15:                              ;   in Loop: Header=BB40_7 Depth=1
	s_or_b64 exec, exec, s[0:1]
	ds_bpermute_b32 v16, v5, v14
	s_waitcnt lgkmcnt(1)
	ds_bpermute_b32 v15, v5, v13
	s_waitcnt lgkmcnt(1)
	v_cmp_lt_f32_e64 s[16:17], v14, v16
	v_cmp_nlt_f32_e64 s[0:1], v14, v16
	s_and_saveexec_b64 s[18:19], s[0:1]
	s_cbranch_execz .LBB40_17
; %bb.16:                               ;   in Loop: Header=BB40_7 Depth=1
	v_cmp_eq_f32_e64 s[0:1], v14, v16
	s_waitcnt lgkmcnt(0)
	v_cmp_lt_i32_e64 s[2:3], v15, v13
	s_and_b64 s[0:1], s[0:1], s[2:3]
	s_andn2_b64 s[2:3], s[16:17], exec
	s_and_b64 s[0:1], s[0:1], exec
	s_or_b64 s[16:17], s[2:3], s[0:1]
.LBB40_17:                              ;   in Loop: Header=BB40_7 Depth=1
	s_or_b64 exec, exec, s[18:19]
	s_and_saveexec_b64 s[0:1], s[16:17]
	s_cbranch_execz .LBB40_19
; %bb.18:                               ;   in Loop: Header=BB40_7 Depth=1
	v_mov_b32_e32 v14, v16
	s_waitcnt lgkmcnt(0)
	v_mov_b32_e32 v13, v15
.LBB40_19:                              ;   in Loop: Header=BB40_7 Depth=1
	s_or_b64 exec, exec, s[0:1]
	ds_bpermute_b32 v16, v6, v14
	s_waitcnt lgkmcnt(1)
	;; [unrolled: 26-line block ×3, first 2 shown]
	ds_bpermute_b32 v15, v7, v13
	s_waitcnt lgkmcnt(1)
	v_cmp_lt_f32_e64 s[16:17], v14, v16
	v_cmp_nlt_f32_e64 s[0:1], v14, v16
	s_and_saveexec_b64 s[18:19], s[0:1]
	s_cbranch_execz .LBB40_25
; %bb.24:                               ;   in Loop: Header=BB40_7 Depth=1
	v_cmp_eq_f32_e64 s[0:1], v14, v16
	s_waitcnt lgkmcnt(0)
	v_cmp_lt_i32_e64 s[2:3], v15, v13
	s_and_b64 s[0:1], s[0:1], s[2:3]
	s_andn2_b64 s[2:3], s[16:17], exec
	s_and_b64 s[0:1], s[0:1], exec
	s_or_b64 s[16:17], s[2:3], s[0:1]
.LBB40_25:                              ;   in Loop: Header=BB40_7 Depth=1
	s_or_b64 exec, exec, s[18:19]
	s_and_saveexec_b64 s[0:1], s[16:17]
	s_cbranch_execz .LBB40_27
; %bb.26:                               ;   in Loop: Header=BB40_7 Depth=1
	v_mov_b32_e32 v14, v16
	s_waitcnt lgkmcnt(0)
	v_mov_b32_e32 v13, v15
.LBB40_27:                              ;   in Loop: Header=BB40_7 Depth=1
	s_or_b64 exec, exec, s[0:1]
	s_waitcnt lgkmcnt(0)
	ds_bpermute_b32 v15, v8, v14
	ds_bpermute_b32 v16, v8, v13
	s_waitcnt lgkmcnt(1)
	v_cmp_lt_f32_e64 s[16:17], v14, v15
	v_cmp_nlt_f32_e64 s[0:1], v14, v15
	s_and_saveexec_b64 s[18:19], s[0:1]
	s_cbranch_execnz .LBB40_33
; %bb.28:                               ;   in Loop: Header=BB40_7 Depth=1
	s_or_b64 exec, exec, s[18:19]
	s_and_saveexec_b64 s[0:1], s[16:17]
	s_cbranch_execnz .LBB40_34
.LBB40_29:                              ;   in Loop: Header=BB40_7 Depth=1
	s_or_b64 exec, exec, s[0:1]
	s_and_saveexec_b64 s[16:17], vcc
	s_cbranch_execz .LBB40_31
.LBB40_30:                              ;   in Loop: Header=BB40_7 Depth=1
	s_waitcnt lgkmcnt(0)
	v_add_u32_e32 v16, s11, v10
	v_ashrrev_i32_e32 v17, 31, v16
	v_cmp_le_i32_e64 s[0:1], s9, v13
	v_cmp_gt_i32_e64 s[2:3], s10, v13
	v_lshlrev_b64 v[16:17], 2, v[16:17]
	s_and_b64 s[2:3], s[0:1], s[2:3]
	v_mov_b32_e32 v15, s13
	v_add_co_u32_e64 v18, s[0:1], s12, v16
	v_addc_co_u32_e64 v19, s[0:1], v15, v17, s[0:1]
	global_store_dword v[18:19], v14, off
	v_subrev_u32_e32 v14, s9, v13
	s_and_b64 s[0:1], s[14:15], s[2:3]
	v_cndmask_b32_e64 v18, v12, v14, s[0:1]
	v_mov_b32_e32 v15, s5
	v_add_co_u32_e64 v14, s[0:1], s4, v16
	v_addc_co_u32_e64 v15, s[0:1], v15, v17, s[0:1]
	global_store_dword v[14:15], v18, off
	v_mov_b32_e32 v15, s7
	v_add_co_u32_e64 v14, s[0:1], s6, v16
	v_addc_co_u32_e64 v15, s[0:1], v15, v17, s[0:1]
	global_store_dword v[14:15], v1, off
.LBB40_31:                              ;   in Loop: Header=BB40_7 Depth=1
	s_or_b64 exec, exec, s[16:17]
	v_ashrrev_i32_e32 v14, 31, v13
	v_lshrrev_b32_e32 v15, 30, v14
	s_waitcnt lgkmcnt(0)
	v_add_u32_e32 v16, v13, v15
	v_ashrrev_i32_e32 v15, 2, v16
	v_ashrrev_i32_e32 v16, 31, v16
	v_lshrrev_b32_e32 v16, 26, v16
	v_add_u32_e32 v16, v15, v16
	s_add_i32 s11, s11, 1
	v_and_b32_e32 v16, 0xffffffc0, v16
	s_cmp_lt_i32 s11, s8
	v_sub_u32_e32 v16, v15, v16
	s_cselect_b64 s[2:3], -1, 0
	v_cmp_eq_u32_e64 s[0:1], v2, v16
	s_and_b64 s[2:3], s[2:3], s[0:1]
	s_and_saveexec_b64 s[0:1], s[2:3]
	s_cbranch_execz .LBB40_6
; %bb.32:                               ;   in Loop: Header=BB40_7 Depth=1
	v_add_u32_sdwa v14, v13, v14 dst_sel:DWORD dst_unused:UNUSED_PAD src0_sel:DWORD src1_sel:BYTE_3
	v_lshlrev_b32_e32 v15, 2, v15
	v_ashrrev_i32_e32 v14, 8, v14
	v_sub_u32_e32 v13, v13, v15
	v_lshl_add_u32 v13, v14, 2, v13
	v_lshl_add_u32 v13, v13, 2, v0
	ds_write_b32 v13, v11
	s_branch .LBB40_6
.LBB40_33:                              ;   in Loop: Header=BB40_7 Depth=1
	v_cmp_eq_f32_e64 s[0:1], v14, v15
	s_waitcnt lgkmcnt(0)
	v_cmp_lt_i32_e64 s[2:3], v16, v13
	s_and_b64 s[0:1], s[0:1], s[2:3]
	s_andn2_b64 s[2:3], s[16:17], exec
	s_and_b64 s[0:1], s[0:1], exec
	s_or_b64 s[16:17], s[2:3], s[0:1]
	s_or_b64 exec, exec, s[18:19]
	s_and_saveexec_b64 s[0:1], s[16:17]
	s_cbranch_execz .LBB40_29
.LBB40_34:                              ;   in Loop: Header=BB40_7 Depth=1
	v_mov_b32_e32 v14, v15
	s_waitcnt lgkmcnt(0)
	v_mov_b32_e32 v13, v16
	s_or_b64 exec, exec, s[0:1]
	s_and_saveexec_b64 s[16:17], vcc
	s_cbranch_execnz .LBB40_30
	s_branch .LBB40_31
.LBB40_35:
	s_endpgm
	.section	.rodata,"a",@progbits
	.p2align	6, 0x0
	.amdhsa_kernel _ZN4vllm3moe17topkGatingSoftmaxILi4ELi256ELi4ELi16ELi64EjEEvPKfPKbPfiPT4_Piiii
		.amdhsa_group_segment_fixed_size 4096
		.amdhsa_private_segment_fixed_size 0
		.amdhsa_kernarg_size 60
		.amdhsa_user_sgpr_count 8
		.amdhsa_user_sgpr_private_segment_buffer 1
		.amdhsa_user_sgpr_dispatch_ptr 1
		.amdhsa_user_sgpr_queue_ptr 0
		.amdhsa_user_sgpr_kernarg_segment_ptr 1
		.amdhsa_user_sgpr_dispatch_id 0
		.amdhsa_user_sgpr_flat_scratch_init 0
		.amdhsa_user_sgpr_kernarg_preload_length 0
		.amdhsa_user_sgpr_kernarg_preload_offset 0
		.amdhsa_user_sgpr_private_segment_size 0
		.amdhsa_uses_dynamic_stack 0
		.amdhsa_system_sgpr_private_segment_wavefront_offset 0
		.amdhsa_system_sgpr_workgroup_id_x 1
		.amdhsa_system_sgpr_workgroup_id_y 0
		.amdhsa_system_sgpr_workgroup_id_z 0
		.amdhsa_system_sgpr_workgroup_info 0
		.amdhsa_system_vgpr_workitem_id 2
		.amdhsa_next_free_vgpr 28
		.amdhsa_next_free_sgpr 21
		.amdhsa_accum_offset 28
		.amdhsa_reserve_vcc 1
		.amdhsa_reserve_flat_scratch 0
		.amdhsa_float_round_mode_32 0
		.amdhsa_float_round_mode_16_64 0
		.amdhsa_float_denorm_mode_32 3
		.amdhsa_float_denorm_mode_16_64 3
		.amdhsa_dx10_clamp 1
		.amdhsa_ieee_mode 1
		.amdhsa_fp16_overflow 0
		.amdhsa_tg_split 0
		.amdhsa_exception_fp_ieee_invalid_op 0
		.amdhsa_exception_fp_denorm_src 0
		.amdhsa_exception_fp_ieee_div_zero 0
		.amdhsa_exception_fp_ieee_overflow 0
		.amdhsa_exception_fp_ieee_underflow 0
		.amdhsa_exception_fp_ieee_inexact 0
		.amdhsa_exception_int_div_zero 0
	.end_amdhsa_kernel
	.section	.text._ZN4vllm3moe17topkGatingSoftmaxILi4ELi256ELi4ELi16ELi64EjEEvPKfPKbPfiPT4_Piiii,"axG",@progbits,_ZN4vllm3moe17topkGatingSoftmaxILi4ELi256ELi4ELi16ELi64EjEEvPKfPKbPfiPT4_Piiii,comdat
.Lfunc_end40:
	.size	_ZN4vllm3moe17topkGatingSoftmaxILi4ELi256ELi4ELi16ELi64EjEEvPKfPKbPfiPT4_Piiii, .Lfunc_end40-_ZN4vllm3moe17topkGatingSoftmaxILi4ELi256ELi4ELi16ELi64EjEEvPKfPKbPfiPT4_Piiii
                                        ; -- End function
	.section	.AMDGPU.csdata,"",@progbits
; Kernel info:
; codeLenInByte = 2168
; NumSgprs: 25
; NumVgprs: 28
; NumAgprs: 0
; TotalNumVgprs: 28
; ScratchSize: 0
; MemoryBound: 0
; FloatMode: 240
; IeeeMode: 1
; LDSByteSize: 4096 bytes/workgroup (compile time only)
; SGPRBlocks: 3
; VGPRBlocks: 3
; NumSGPRsForWavesPerEU: 25
; NumVGPRsForWavesPerEU: 28
; AccumOffset: 28
; Occupancy: 8
; WaveLimiterHint : 0
; COMPUTE_PGM_RSRC2:SCRATCH_EN: 0
; COMPUTE_PGM_RSRC2:USER_SGPR: 8
; COMPUTE_PGM_RSRC2:TRAP_HANDLER: 0
; COMPUTE_PGM_RSRC2:TGID_X_EN: 1
; COMPUTE_PGM_RSRC2:TGID_Y_EN: 0
; COMPUTE_PGM_RSRC2:TGID_Z_EN: 0
; COMPUTE_PGM_RSRC2:TIDIG_COMP_CNT: 2
; COMPUTE_PGM_RSRC3_GFX90A:ACCUM_OFFSET: 6
; COMPUTE_PGM_RSRC3_GFX90A:TG_SPLIT: 0
	.section	.text._ZN4vllm3moe17topkGatingSoftmaxILi8ELi256ELi4ELi16ELi32EjEEvPKfPKbPfiPT4_Piiii,"axG",@progbits,_ZN4vllm3moe17topkGatingSoftmaxILi8ELi256ELi4ELi16ELi32EjEEvPKfPKbPfiPT4_Piiii,comdat
	.protected	_ZN4vllm3moe17topkGatingSoftmaxILi8ELi256ELi4ELi16ELi32EjEEvPKfPKbPfiPT4_Piiii ; -- Begin function _ZN4vllm3moe17topkGatingSoftmaxILi8ELi256ELi4ELi16ELi32EjEEvPKfPKbPfiPT4_Piiii
	.globl	_ZN4vllm3moe17topkGatingSoftmaxILi8ELi256ELi4ELi16ELi32EjEEvPKfPKbPfiPT4_Piiii
	.p2align	8
	.type	_ZN4vllm3moe17topkGatingSoftmaxILi8ELi256ELi4ELi16ELi32EjEEvPKfPKbPfiPT4_Piiii,@function
_ZN4vllm3moe17topkGatingSoftmaxILi8ELi256ELi4ELi16ELi32EjEEvPKfPKbPfiPT4_Piiii: ; @_ZN4vllm3moe17topkGatingSoftmaxILi8ELi256ELi4ELi16ELi32EjEEvPKfPKbPfiPT4_Piiii
; %bb.0:
	s_load_dword s20, s[6:7], 0x18
	v_and_b32_e32 v8, 0x3ff, v0
	v_bfe_u32 v9, v0, 10, 10
	s_lshl_b32 s0, s8, 2
	v_lshrrev_b32_e32 v1, 5, v8
	v_add3_u32 v1, s0, v9, v1
	s_waitcnt lgkmcnt(0)
	v_cmp_gt_i32_e32 vcc, s20, v1
	s_and_saveexec_b64 s[0:1], vcc
	s_cbranch_execz .LBB41_31
; %bb.1:
	s_load_dwordx4 s[0:3], s[6:7], 0x0
	s_load_dwordx2 s[12:13], s[6:7], 0x10
	s_waitcnt lgkmcnt(0)
	s_cmp_eq_u64 s[2:3], 0
	s_cbranch_scc1 .LBB41_3
; %bb.2:
	v_ashrrev_i32_e32 v3, 31, v1
	v_mov_b32_e32 v4, s3
	v_add_co_u32_e32 v2, vcc, s2, v1
	v_addc_co_u32_e32 v3, vcc, v4, v3, vcc
	global_load_ubyte v2, v[2:3], off
	s_waitcnt vmcnt(0)
	v_and_b32_e32 v2, 1, v2
	v_cmp_eq_u32_e32 vcc, 1, v2
	s_xor_b64 s[2:3], vcc, -1
	s_orn2_b64 s[14:15], s[2:3], exec
	s_branch .LBB41_4
.LBB41_3:
	s_mov_b64 s[14:15], -1
.LBB41_4:
	v_lshlrev_b32_e32 v2, 8, v1
	v_ashrrev_i32_e32 v3, 31, v2
	v_lshlrev_b64 v[2:3], 2, v[2:3]
	v_mov_b32_e32 v4, s1
	v_add_co_u32_e32 v5, vcc, s0, v2
	v_and_b32_e32 v2, 31, v8
	v_addc_co_u32_e32 v3, vcc, v4, v3, vcc
	v_lshlrev_b32_e32 v4, 4, v2
	v_add_co_u32_e32 v4, vcc, v5, v4
	v_addc_co_u32_e32 v5, vcc, 0, v3, vcc
	global_load_dwordx4 v[10:13], v[4:5], off
	global_load_dwordx4 v[14:17], v[4:5], off offset:512
	v_mbcnt_lo_u32_b32 v3, -1, 0
	v_mbcnt_hi_u32_b32 v7, -1, v3
	v_and_b32_e32 v3, 0x60, v7
	v_xor_b32_e32 v4, 16, v7
	v_add_u32_e32 v18, 32, v3
	v_cmp_lt_i32_e32 vcc, v4, v18
	v_cndmask_b32_e32 v3, v7, v4, vcc
	v_lshlrev_b32_e32 v3, 2, v3
	v_xor_b32_e32 v21, 1, v7
	s_mov_b32 s0, 0x3fb8aa3b
	s_mov_b32 s1, 0xc2ce8ed0
	;; [unrolled: 1-line block ×3, first 2 shown]
	v_bfe_u32 v0, v0, 20, 10
	s_waitcnt vmcnt(1)
	v_max_f32_e32 v4, v11, v11
	v_max_f32_e32 v5, v10, v10
	;; [unrolled: 1-line block ×3, first 2 shown]
	v_max3_f32 v4, v4, v12, v13
	s_waitcnt vmcnt(0)
	v_max3_f32 v4, v4, v14, v15
	v_max3_f32 v5, v4, v16, v17
	ds_bpermute_b32 v6, v3, v5
	v_xor_b32_e32 v4, 8, v7
	v_cmp_lt_i32_e32 vcc, v4, v18
	v_cndmask_b32_e32 v4, v7, v4, vcc
	v_lshlrev_b32_e32 v4, 2, v4
	s_waitcnt lgkmcnt(0)
	v_max_f32_e32 v6, v6, v6
	v_max_f32_e32 v6, v5, v6
	ds_bpermute_b32 v19, v4, v6
	v_xor_b32_e32 v5, 4, v7
	v_cmp_lt_i32_e32 vcc, v5, v18
	v_cndmask_b32_e32 v5, v7, v5, vcc
	v_lshlrev_b32_e32 v5, 2, v5
	s_waitcnt lgkmcnt(0)
	v_max_f32_e32 v19, v19, v19
	v_max_f32_e32 v19, v6, v19
	;; [unrolled: 8-line block ×3, first 2 shown]
	ds_bpermute_b32 v20, v6, v19
	v_cmp_lt_i32_e32 vcc, v21, v18
	v_cndmask_b32_e32 v7, v7, v21, vcc
	v_lshlrev_b32_e32 v7, 2, v7
	s_waitcnt lgkmcnt(0)
	v_max_f32_e32 v18, v20, v20
	v_max_f32_e32 v18, v19, v18
	ds_bpermute_b32 v19, v7, v18
	v_mov_b32_e32 v20, 0x7f800000
	s_waitcnt lgkmcnt(0)
	v_max_f32_e32 v19, v19, v19
	v_max_f32_e32 v18, v18, v19
	v_pk_add_f32 v[12:13], v[12:13], v[18:19] op_sel_hi:[1,0] neg_lo:[0,1] neg_hi:[0,1]
	v_pk_add_f32 v[14:15], v[14:15], v[18:19] op_sel_hi:[1,0] neg_lo:[0,1] neg_hi:[0,1]
	;; [unrolled: 1-line block ×3, first 2 shown]
	v_mul_f32_e32 v19, 0x3fb8aa3b, v13
	v_mul_f32_e32 v21, 0x3fb8aa3b, v12
	v_fma_f32 v26, v13, s0, -v19
	v_rndne_f32_e32 v27, v19
	v_mul_f32_e32 v22, 0x3fb8aa3b, v15
	v_fma_f32 v28, v12, s0, -v21
	v_rndne_f32_e32 v29, v21
	v_fmac_f32_e32 v26, 0x32a5705f, v13
	v_sub_f32_e32 v19, v19, v27
	v_mul_f32_e32 v23, 0x3fb8aa3b, v14
	v_fma_f32 v30, v15, s0, -v22
	v_rndne_f32_e32 v31, v22
	v_fmac_f32_e32 v28, 0x32a5705f, v12
	v_sub_f32_e32 v21, v21, v29
	v_add_f32_e32 v19, v19, v26
	v_fma_f32 v32, v14, s0, -v23
	v_rndne_f32_e32 v33, v23
	v_cvt_i32_f32_e32 v27, v27
	v_fmac_f32_e32 v30, 0x32a5705f, v15
	v_sub_f32_e32 v22, v22, v31
	v_add_f32_e32 v21, v21, v28
	v_exp_f32_e32 v19, v19
	v_cvt_i32_f32_e32 v29, v29
	v_fmac_f32_e32 v32, 0x32a5705f, v14
	v_sub_f32_e32 v23, v23, v33
	v_add_f32_e32 v22, v22, v30
	v_exp_f32_e32 v21, v21
	v_cvt_i32_f32_e32 v31, v31
	v_add_f32_e32 v23, v23, v32
	v_exp_f32_e32 v22, v22
	v_cvt_i32_f32_e32 v33, v33
	v_exp_f32_e32 v23, v23
	v_mul_f32_e32 v24, 0x3fb8aa3b, v17
	v_ldexp_f32 v19, v19, v27
	v_cmp_ngt_f32_e32 vcc, s1, v13
	v_fma_f32 v34, v17, s0, -v24
	v_rndne_f32_e32 v35, v24
	v_ldexp_f32 v21, v21, v29
	v_cndmask_b32_e32 v19, 0, v19, vcc
	v_cmp_ngt_f32_e32 vcc, s1, v12
	v_mul_f32_e32 v25, 0x3fb8aa3b, v16
	v_fmac_f32_e32 v34, 0x32a5705f, v17
	v_sub_f32_e32 v24, v24, v35
	v_ldexp_f32 v22, v22, v31
	v_cndmask_b32_e32 v21, 0, v21, vcc
	v_cmp_ngt_f32_e32 vcc, s1, v15
	v_fma_f32 v36, v16, s0, -v25
	v_rndne_f32_e32 v37, v25
	v_add_f32_e32 v24, v24, v34
	v_ldexp_f32 v23, v23, v33
	v_cndmask_b32_e32 v22, 0, v22, vcc
	v_cmp_ngt_f32_e32 vcc, s1, v14
	v_cvt_i32_f32_e32 v35, v35
	v_fmac_f32_e32 v36, 0x32a5705f, v16
	v_sub_f32_e32 v25, v25, v37
	v_exp_f32_e32 v24, v24
	v_cndmask_b32_e32 v23, 0, v23, vcc
	v_cmp_nlt_f32_e32 vcc, s2, v13
	v_add_f32_e32 v25, v25, v36
	v_cndmask_b32_e32 v13, v20, v19, vcc
	v_cmp_nlt_f32_e32 vcc, s2, v12
	v_cvt_i32_f32_e32 v37, v37
	v_exp_f32_e32 v25, v25
	v_cndmask_b32_e32 v12, v20, v21, vcc
	v_cmp_nlt_f32_e32 vcc, s2, v15
	v_cndmask_b32_e32 v15, v20, v22, vcc
	v_cmp_nlt_f32_e32 vcc, s2, v14
	v_ldexp_f32 v24, v24, v35
	v_cndmask_b32_e32 v14, v20, v23, vcc
	v_cmp_ngt_f32_e32 vcc, s1, v17
	v_cndmask_b32_e32 v19, 0, v24, vcc
	v_cmp_nlt_f32_e32 vcc, s2, v17
	v_cndmask_b32_e32 v17, v20, v19, vcc
	v_ldexp_f32 v19, v25, v37
	v_pk_add_f32 v[10:11], v[10:11], v[18:19] op_sel_hi:[1,0] neg_lo:[0,1] neg_hi:[0,1]
	v_mul_f32_e32 v18, 0x3fb8aa3b, v11
	v_fma_f32 v21, v11, s0, -v18
	v_rndne_f32_e32 v22, v18
	v_fmac_f32_e32 v21, 0x32a5705f, v11
	v_sub_f32_e32 v18, v18, v22
	v_add_f32_e32 v18, v18, v21
	v_exp_f32_e32 v18, v18
	v_cvt_i32_f32_e32 v21, v22
	v_cmp_ngt_f32_e32 vcc, s1, v16
	v_cndmask_b32_e32 v19, 0, v19, vcc
	v_cmp_nlt_f32_e32 vcc, s2, v16
	v_cndmask_b32_e32 v16, v20, v19, vcc
	v_mul_f32_e32 v19, 0x3fb8aa3b, v10
	v_ldexp_f32 v18, v18, v21
	v_fma_f32 v21, v10, s0, -v19
	v_rndne_f32_e32 v22, v19
	v_fmac_f32_e32 v21, 0x32a5705f, v10
	v_sub_f32_e32 v19, v19, v22
	v_add_f32_e32 v19, v19, v21
	v_exp_f32_e32 v19, v19
	v_cvt_i32_f32_e32 v21, v22
	v_cmp_ngt_f32_e32 vcc, s1, v11
	v_cndmask_b32_e32 v18, 0, v18, vcc
	v_cmp_nlt_f32_e32 vcc, s2, v11
	v_cndmask_b32_e32 v11, v20, v18, vcc
	v_ldexp_f32 v18, v19, v21
	v_cmp_ngt_f32_e32 vcc, s1, v10
	v_cndmask_b32_e32 v18, 0, v18, vcc
	v_cmp_nlt_f32_e32 vcc, s2, v10
	v_cndmask_b32_e32 v10, v20, v18, vcc
	v_add_f32_e32 v18, v10, v11
	v_add_f32_e32 v18, v18, v12
	;; [unrolled: 1-line block ×7, first 2 shown]
	ds_bpermute_b32 v19, v3, v18
	s_load_dwordx2 s[0:1], s[4:5], 0x4
	s_load_dwordx4 s[8:11], s[6:7], 0x30
	s_waitcnt lgkmcnt(0)
	s_mov_b32 s11, 0
	v_add_f32_e32 v18, v18, v19
	ds_bpermute_b32 v19, v4, v18
	s_lshr_b32 s0, s0, 16
	s_mul_i32 s0, s0, s1
	v_mul_u32_u24_e32 v9, s1, v9
	v_mad_u32_u24 v8, s0, v8, v9
	s_waitcnt lgkmcnt(0)
	v_add_f32_e32 v18, v18, v19
	ds_bpermute_b32 v19, v5, v18
	v_add_lshl_u32 v0, v8, v0, 5
	s_cmp_lt_i32 s8, 1
	s_waitcnt lgkmcnt(0)
	v_add_f32_e32 v18, v18, v19
	ds_bpermute_b32 v19, v6, v18
	s_waitcnt lgkmcnt(0)
	v_add_f32_e32 v18, v18, v19
	ds_bpermute_b32 v19, v7, v18
	s_waitcnt lgkmcnt(0)
	v_add_f32_e32 v9, v18, v19
	v_div_scale_f32 v18, s[0:1], v9, v9, 1.0
	v_rcp_f32_e32 v19, v18
	v_fma_f32 v8, -v18, v19, 1.0
	v_fmac_f32_e32 v19, v8, v19
	v_div_scale_f32 v8, vcc, 1.0, v9, 1.0
	v_mul_f32_e32 v20, v8, v19
	v_fma_f32 v21, -v18, v20, v8
	v_fmac_f32_e32 v20, v21, v19
	v_fma_f32 v8, -v18, v20, v8
	v_div_fmas_f32 v8, v8, v19, v20
	v_div_fixup_f32 v18, v8, v9, 1.0
	v_pk_mul_f32 v[8:9], v[18:19], v[10:11] op_sel_hi:[0,1]
	v_pk_mul_f32 v[10:11], v[18:19], v[12:13] op_sel_hi:[0,1]
	ds_write_b128 v0, v[8:11]
	v_pk_mul_f32 v[8:9], v[18:19], v[14:15] op_sel_hi:[0,1]
	v_pk_mul_f32 v[10:11], v[18:19], v[16:17] op_sel_hi:[0,1]
	ds_write_b128 v0, v[8:11] offset:16
	s_cbranch_scc1 .LBB41_31
; %bb.5:
	s_load_dwordx4 s[4:7], s[6:7], 0x20
	v_lshlrev_b32_e32 v8, 2, v2
	v_cmp_eq_u32_e32 vcc, 0, v2
	v_mul_lo_u32 v9, v1, s8
	v_mov_b32_e32 v10, 0xc61c4000
	v_mov_b32_e32 v11, 0x80
	;; [unrolled: 1-line block ×6, first 2 shown]
	s_branch .LBB41_7
.LBB41_6:                               ;   in Loop: Header=BB41_7 Depth=1
	s_or_b64 exec, exec, s[0:1]
	s_cmp_lg_u32 s8, s11
	v_add_u32_e32 v1, s20, v1
	s_cbranch_scc0 .LBB41_31
.LBB41_7:                               ; =>This Inner Loop Header: Depth=1
	ds_read_b128 v[16:19], v0
	ds_read_b128 v[20:23], v0 offset:16
	s_waitcnt lgkmcnt(0)
	v_cmp_gt_f32_e64 s[0:1], v17, v16
	v_cndmask_b32_e64 v16, v16, v17, s[0:1]
	v_cndmask_b32_e64 v17, 0, 1, s[0:1]
	v_cmp_gt_f32_e64 s[0:1], v18, v16
	v_cndmask_b32_e64 v16, v16, v18, s[0:1]
	v_cndmask_b32_e64 v17, v17, 2, s[0:1]
	;; [unrolled: 3-line block ×7, first 2 shown]
	ds_bpermute_b32 v18, v3, v17
	v_or_b32_e32 v16, v8, v16
	ds_bpermute_b32 v19, v3, v16
	s_waitcnt lgkmcnt(1)
	v_cmp_lt_f32_e64 s[16:17], v17, v18
	v_cmp_nlt_f32_e64 s[0:1], v17, v18
	s_and_saveexec_b64 s[18:19], s[0:1]
	s_cbranch_execz .LBB41_9
; %bb.8:                                ;   in Loop: Header=BB41_7 Depth=1
	v_cmp_eq_f32_e64 s[0:1], v17, v18
	s_waitcnt lgkmcnt(0)
	v_cmp_lt_i32_e64 s[2:3], v19, v16
	s_and_b64 s[0:1], s[0:1], s[2:3]
	s_andn2_b64 s[2:3], s[16:17], exec
	s_and_b64 s[0:1], s[0:1], exec
	s_or_b64 s[16:17], s[2:3], s[0:1]
.LBB41_9:                               ;   in Loop: Header=BB41_7 Depth=1
	s_or_b64 exec, exec, s[18:19]
	s_and_saveexec_b64 s[0:1], s[16:17]
	s_cbranch_execz .LBB41_11
; %bb.10:                               ;   in Loop: Header=BB41_7 Depth=1
	v_mov_b32_e32 v17, v18
	s_waitcnt lgkmcnt(0)
	v_mov_b32_e32 v16, v19
.LBB41_11:                              ;   in Loop: Header=BB41_7 Depth=1
	s_or_b64 exec, exec, s[0:1]
	s_waitcnt lgkmcnt(0)
	ds_bpermute_b32 v19, v4, v17
	ds_bpermute_b32 v18, v4, v16
	s_waitcnt lgkmcnt(1)
	v_cmp_lt_f32_e64 s[16:17], v17, v19
	v_cmp_nlt_f32_e64 s[0:1], v17, v19
	s_and_saveexec_b64 s[18:19], s[0:1]
	s_cbranch_execz .LBB41_13
; %bb.12:                               ;   in Loop: Header=BB41_7 Depth=1
	v_cmp_eq_f32_e64 s[0:1], v17, v19
	s_waitcnt lgkmcnt(0)
	v_cmp_lt_i32_e64 s[2:3], v18, v16
	s_and_b64 s[0:1], s[0:1], s[2:3]
	s_andn2_b64 s[2:3], s[16:17], exec
	s_and_b64 s[0:1], s[0:1], exec
	s_or_b64 s[16:17], s[2:3], s[0:1]
.LBB41_13:                              ;   in Loop: Header=BB41_7 Depth=1
	s_or_b64 exec, exec, s[18:19]
	s_and_saveexec_b64 s[0:1], s[16:17]
	s_cbranch_execz .LBB41_15
; %bb.14:                               ;   in Loop: Header=BB41_7 Depth=1
	v_mov_b32_e32 v17, v19
	s_waitcnt lgkmcnt(0)
	v_mov_b32_e32 v16, v18
.LBB41_15:                              ;   in Loop: Header=BB41_7 Depth=1
	s_or_b64 exec, exec, s[0:1]
	ds_bpermute_b32 v19, v5, v17
	s_waitcnt lgkmcnt(1)
	ds_bpermute_b32 v18, v5, v16
	s_waitcnt lgkmcnt(1)
	v_cmp_lt_f32_e64 s[16:17], v17, v19
	v_cmp_nlt_f32_e64 s[0:1], v17, v19
	s_and_saveexec_b64 s[18:19], s[0:1]
	s_cbranch_execz .LBB41_17
; %bb.16:                               ;   in Loop: Header=BB41_7 Depth=1
	v_cmp_eq_f32_e64 s[0:1], v17, v19
	s_waitcnt lgkmcnt(0)
	v_cmp_lt_i32_e64 s[2:3], v18, v16
	s_and_b64 s[0:1], s[0:1], s[2:3]
	s_andn2_b64 s[2:3], s[16:17], exec
	s_and_b64 s[0:1], s[0:1], exec
	s_or_b64 s[16:17], s[2:3], s[0:1]
.LBB41_17:                              ;   in Loop: Header=BB41_7 Depth=1
	s_or_b64 exec, exec, s[18:19]
	s_and_saveexec_b64 s[0:1], s[16:17]
	s_cbranch_execz .LBB41_19
; %bb.18:                               ;   in Loop: Header=BB41_7 Depth=1
	v_mov_b32_e32 v17, v19
	s_waitcnt lgkmcnt(0)
	v_mov_b32_e32 v16, v18
.LBB41_19:                              ;   in Loop: Header=BB41_7 Depth=1
	s_or_b64 exec, exec, s[0:1]
	ds_bpermute_b32 v19, v6, v17
	s_waitcnt lgkmcnt(1)
	ds_bpermute_b32 v18, v6, v16
	s_waitcnt lgkmcnt(1)
	v_cmp_lt_f32_e64 s[16:17], v17, v19
	v_cmp_nlt_f32_e64 s[0:1], v17, v19
	s_and_saveexec_b64 s[18:19], s[0:1]
	s_cbranch_execz .LBB41_21
; %bb.20:                               ;   in Loop: Header=BB41_7 Depth=1
	v_cmp_eq_f32_e64 s[0:1], v17, v19
	s_waitcnt lgkmcnt(0)
	v_cmp_lt_i32_e64 s[2:3], v18, v16
	s_and_b64 s[0:1], s[0:1], s[2:3]
	s_andn2_b64 s[2:3], s[16:17], exec
	s_and_b64 s[0:1], s[0:1], exec
	s_or_b64 s[16:17], s[2:3], s[0:1]
.LBB41_21:                              ;   in Loop: Header=BB41_7 Depth=1
	s_or_b64 exec, exec, s[18:19]
	s_and_saveexec_b64 s[0:1], s[16:17]
	s_cbranch_execz .LBB41_23
; %bb.22:                               ;   in Loop: Header=BB41_7 Depth=1
	v_mov_b32_e32 v17, v19
	s_waitcnt lgkmcnt(0)
	v_mov_b32_e32 v16, v18
.LBB41_23:                              ;   in Loop: Header=BB41_7 Depth=1
	s_or_b64 exec, exec, s[0:1]
	s_waitcnt lgkmcnt(0)
	ds_bpermute_b32 v18, v7, v17
	ds_bpermute_b32 v19, v7, v16
	s_waitcnt lgkmcnt(1)
	v_cmp_lt_f32_e64 s[16:17], v17, v18
	v_cmp_nlt_f32_e64 s[0:1], v17, v18
	s_and_saveexec_b64 s[18:19], s[0:1]
	s_cbranch_execnz .LBB41_29
; %bb.24:                               ;   in Loop: Header=BB41_7 Depth=1
	s_or_b64 exec, exec, s[18:19]
	s_and_saveexec_b64 s[0:1], s[16:17]
	s_cbranch_execnz .LBB41_30
.LBB41_25:                              ;   in Loop: Header=BB41_7 Depth=1
	s_or_b64 exec, exec, s[0:1]
	s_and_saveexec_b64 s[16:17], vcc
	s_cbranch_execz .LBB41_27
.LBB41_26:                              ;   in Loop: Header=BB41_7 Depth=1
	v_add_u32_e32 v18, s11, v9
	s_waitcnt lgkmcnt(0)
	v_ashrrev_i32_e32 v19, 31, v18
	v_cmp_le_i32_e64 s[0:1], s9, v16
	v_cmp_gt_i32_e64 s[2:3], s10, v16
	v_lshlrev_b64 v[18:19], 2, v[18:19]
	s_and_b64 s[2:3], s[0:1], s[2:3]
	v_mov_b32_e32 v21, s13
	v_add_co_u32_e64 v20, s[0:1], s12, v18
	v_addc_co_u32_e64 v21, s[0:1], v21, v19, s[0:1]
	global_store_dword v[20:21], v17, off
	v_subrev_u32_e32 v17, s9, v16
	s_and_b64 s[0:1], s[14:15], s[2:3]
	v_cndmask_b32_e64 v17, v15, v17, s[0:1]
	v_mov_b32_e32 v21, s5
	v_add_co_u32_e64 v20, s[0:1], s4, v18
	v_addc_co_u32_e64 v21, s[0:1], v21, v19, s[0:1]
	global_store_dword v[20:21], v17, off
	v_mov_b32_e32 v17, s7
	v_add_co_u32_e64 v18, s[0:1], s6, v18
	v_addc_co_u32_e64 v19, s[0:1], v17, v19, s[0:1]
	global_store_dword v[18:19], v1, off
.LBB41_27:                              ;   in Loop: Header=BB41_7 Depth=1
	s_or_b64 exec, exec, s[16:17]
	v_ashrrev_i32_e32 v18, 31, v16
	v_lshrrev_b32_e32 v17, 30, v18
	s_waitcnt lgkmcnt(0)
	v_add_u32_e32 v19, v16, v17
	v_ashrrev_i32_e32 v17, 2, v19
	v_ashrrev_i32_e32 v19, 31, v19
	v_lshrrev_b32_e32 v19, 27, v19
	v_add_u32_e32 v19, v17, v19
	s_add_i32 s11, s11, 1
	v_and_b32_e32 v19, 0xffffffe0, v19
	s_cmp_lt_i32 s11, s8
	v_sub_u32_e32 v19, v17, v19
	s_cselect_b64 s[2:3], -1, 0
	v_cmp_eq_u32_e64 s[0:1], v2, v19
	s_and_b64 s[2:3], s[2:3], s[0:1]
	s_and_saveexec_b64 s[0:1], s[2:3]
	s_cbranch_execz .LBB41_6
; %bb.28:                               ;   in Loop: Header=BB41_7 Depth=1
	v_lshrrev_b32_e32 v18, 25, v18
	v_add_u32_e32 v18, v16, v18
	v_lshlrev_b32_e32 v17, 2, v17
	v_ashrrev_i32_e32 v18, 7, v18
	v_sub_u32_e32 v16, v16, v17
	v_lshl_add_u32 v16, v18, 2, v16
	v_lshl_add_u32 v16, v16, 2, v0
	ds_write_b32 v16, v10
	s_branch .LBB41_6
.LBB41_29:                              ;   in Loop: Header=BB41_7 Depth=1
	v_cmp_eq_f32_e64 s[0:1], v17, v18
	s_waitcnt lgkmcnt(0)
	v_cmp_lt_i32_e64 s[2:3], v19, v16
	s_and_b64 s[0:1], s[0:1], s[2:3]
	s_andn2_b64 s[2:3], s[16:17], exec
	s_and_b64 s[0:1], s[0:1], exec
	s_or_b64 s[16:17], s[2:3], s[0:1]
	s_or_b64 exec, exec, s[18:19]
	s_and_saveexec_b64 s[0:1], s[16:17]
	s_cbranch_execz .LBB41_25
.LBB41_30:                              ;   in Loop: Header=BB41_7 Depth=1
	v_mov_b32_e32 v17, v18
	s_waitcnt lgkmcnt(0)
	v_mov_b32_e32 v16, v19
	s_or_b64 exec, exec, s[0:1]
	s_and_saveexec_b64 s[16:17], vcc
	s_cbranch_execnz .LBB41_26
	s_branch .LBB41_27
.LBB41_31:
	s_endpgm
	.section	.rodata,"a",@progbits
	.p2align	6, 0x0
	.amdhsa_kernel _ZN4vllm3moe17topkGatingSoftmaxILi8ELi256ELi4ELi16ELi32EjEEvPKfPKbPfiPT4_Piiii
		.amdhsa_group_segment_fixed_size 4096
		.amdhsa_private_segment_fixed_size 0
		.amdhsa_kernarg_size 60
		.amdhsa_user_sgpr_count 8
		.amdhsa_user_sgpr_private_segment_buffer 1
		.amdhsa_user_sgpr_dispatch_ptr 1
		.amdhsa_user_sgpr_queue_ptr 0
		.amdhsa_user_sgpr_kernarg_segment_ptr 1
		.amdhsa_user_sgpr_dispatch_id 0
		.amdhsa_user_sgpr_flat_scratch_init 0
		.amdhsa_user_sgpr_kernarg_preload_length 0
		.amdhsa_user_sgpr_kernarg_preload_offset 0
		.amdhsa_user_sgpr_private_segment_size 0
		.amdhsa_uses_dynamic_stack 0
		.amdhsa_system_sgpr_private_segment_wavefront_offset 0
		.amdhsa_system_sgpr_workgroup_id_x 1
		.amdhsa_system_sgpr_workgroup_id_y 0
		.amdhsa_system_sgpr_workgroup_id_z 0
		.amdhsa_system_sgpr_workgroup_info 0
		.amdhsa_system_vgpr_workitem_id 2
		.amdhsa_next_free_vgpr 38
		.amdhsa_next_free_sgpr 21
		.amdhsa_accum_offset 40
		.amdhsa_reserve_vcc 1
		.amdhsa_reserve_flat_scratch 0
		.amdhsa_float_round_mode_32 0
		.amdhsa_float_round_mode_16_64 0
		.amdhsa_float_denorm_mode_32 3
		.amdhsa_float_denorm_mode_16_64 3
		.amdhsa_dx10_clamp 1
		.amdhsa_ieee_mode 1
		.amdhsa_fp16_overflow 0
		.amdhsa_tg_split 0
		.amdhsa_exception_fp_ieee_invalid_op 0
		.amdhsa_exception_fp_denorm_src 0
		.amdhsa_exception_fp_ieee_div_zero 0
		.amdhsa_exception_fp_ieee_overflow 0
		.amdhsa_exception_fp_ieee_underflow 0
		.amdhsa_exception_fp_ieee_inexact 0
		.amdhsa_exception_int_div_zero 0
	.end_amdhsa_kernel
	.section	.text._ZN4vllm3moe17topkGatingSoftmaxILi8ELi256ELi4ELi16ELi32EjEEvPKfPKbPfiPT4_Piiii,"axG",@progbits,_ZN4vllm3moe17topkGatingSoftmaxILi8ELi256ELi4ELi16ELi32EjEEvPKfPKbPfiPT4_Piiii,comdat
.Lfunc_end41:
	.size	_ZN4vllm3moe17topkGatingSoftmaxILi8ELi256ELi4ELi16ELi32EjEEvPKfPKbPfiPT4_Piiii, .Lfunc_end41-_ZN4vllm3moe17topkGatingSoftmaxILi8ELi256ELi4ELi16ELi32EjEEvPKfPKbPfiPT4_Piiii
                                        ; -- End function
	.section	.AMDGPU.csdata,"",@progbits
; Kernel info:
; codeLenInByte = 2496
; NumSgprs: 25
; NumVgprs: 38
; NumAgprs: 0
; TotalNumVgprs: 38
; ScratchSize: 0
; MemoryBound: 0
; FloatMode: 240
; IeeeMode: 1
; LDSByteSize: 4096 bytes/workgroup (compile time only)
; SGPRBlocks: 3
; VGPRBlocks: 4
; NumSGPRsForWavesPerEU: 25
; NumVGPRsForWavesPerEU: 38
; AccumOffset: 40
; Occupancy: 8
; WaveLimiterHint : 0
; COMPUTE_PGM_RSRC2:SCRATCH_EN: 0
; COMPUTE_PGM_RSRC2:USER_SGPR: 8
; COMPUTE_PGM_RSRC2:TRAP_HANDLER: 0
; COMPUTE_PGM_RSRC2:TGID_X_EN: 1
; COMPUTE_PGM_RSRC2:TGID_Y_EN: 0
; COMPUTE_PGM_RSRC2:TGID_Z_EN: 0
; COMPUTE_PGM_RSRC2:TIDIG_COMP_CNT: 2
; COMPUTE_PGM_RSRC3_GFX90A:ACCUM_OFFSET: 9
; COMPUTE_PGM_RSRC3_GFX90A:TG_SPLIT: 0
	.section	.text._ZN4vllm3moe17topkGatingSoftmaxILi8ELi512ELi4ELi16ELi64EjEEvPKfPKbPfiPT4_Piiii,"axG",@progbits,_ZN4vllm3moe17topkGatingSoftmaxILi8ELi512ELi4ELi16ELi64EjEEvPKfPKbPfiPT4_Piiii,comdat
	.protected	_ZN4vllm3moe17topkGatingSoftmaxILi8ELi512ELi4ELi16ELi64EjEEvPKfPKbPfiPT4_Piiii ; -- Begin function _ZN4vllm3moe17topkGatingSoftmaxILi8ELi512ELi4ELi16ELi64EjEEvPKfPKbPfiPT4_Piiii
	.globl	_ZN4vllm3moe17topkGatingSoftmaxILi8ELi512ELi4ELi16ELi64EjEEvPKfPKbPfiPT4_Piiii
	.p2align	8
	.type	_ZN4vllm3moe17topkGatingSoftmaxILi8ELi512ELi4ELi16ELi64EjEEvPKfPKbPfiPT4_Piiii,@function
_ZN4vllm3moe17topkGatingSoftmaxILi8ELi512ELi4ELi16ELi64EjEEvPKfPKbPfiPT4_Piiii: ; @_ZN4vllm3moe17topkGatingSoftmaxILi8ELi512ELi4ELi16ELi64EjEEvPKfPKbPfiPT4_Piiii
; %bb.0:
	s_load_dword s20, s[6:7], 0x18
	v_and_b32_e32 v13, 0x3ff, v0
	v_bfe_u32 v14, v0, 10, 10
	s_lshl_b32 s0, s8, 2
	v_lshrrev_b32_e32 v1, 6, v13
	v_add3_u32 v1, s0, v14, v1
	s_waitcnt lgkmcnt(0)
	v_cmp_gt_i32_e32 vcc, s20, v1
	s_and_saveexec_b64 s[0:1], vcc
	s_cbranch_execz .LBB42_35
; %bb.1:
	s_load_dwordx4 s[0:3], s[6:7], 0x0
	s_load_dwordx2 s[12:13], s[6:7], 0x10
	s_waitcnt lgkmcnt(0)
	s_cmp_eq_u64 s[2:3], 0
	s_cbranch_scc1 .LBB42_3
; %bb.2:
	v_ashrrev_i32_e32 v3, 31, v1
	v_mov_b32_e32 v4, s3
	v_add_co_u32_e32 v2, vcc, s2, v1
	v_addc_co_u32_e32 v3, vcc, v4, v3, vcc
	global_load_ubyte v2, v[2:3], off
	s_waitcnt vmcnt(0)
	v_and_b32_e32 v2, 1, v2
	v_cmp_eq_u32_e32 vcc, 1, v2
	s_xor_b64 s[2:3], vcc, -1
	s_orn2_b64 s[14:15], s[2:3], exec
	s_branch .LBB42_4
.LBB42_3:
	s_mov_b64 s[14:15], -1
.LBB42_4:
	v_lshlrev_b32_e32 v2, 9, v1
	v_ashrrev_i32_e32 v3, 31, v2
	v_lshlrev_b64 v[2:3], 2, v[2:3]
	v_mov_b32_e32 v4, s1
	v_add_co_u32_e32 v2, vcc, s0, v2
	v_and_b32_e32 v6, 63, v13
	v_addc_co_u32_e32 v3, vcc, v4, v3, vcc
	v_lshlrev_b32_e32 v4, 4, v6
	v_add_co_u32_e32 v8, vcc, v2, v4
	v_addc_co_u32_e32 v9, vcc, 0, v3, vcc
	global_load_dwordx4 v[2:5], v[8:9], off
	global_load_dwordx4 v[16:19], v[8:9], off offset:1024
	v_mbcnt_lo_u32_b32 v7, -1, 0
	v_mbcnt_hi_u32_b32 v12, -1, v7
	v_and_b32_e32 v7, 64, v12
	v_xor_b32_e32 v8, 32, v12
	v_add_u32_e32 v15, 64, v7
	v_cmp_lt_i32_e32 vcc, v8, v15
	v_cndmask_b32_e32 v7, v12, v8, vcc
	v_lshlrev_b32_e32 v7, 2, v7
	v_xor_b32_e32 v22, 1, v12
	s_mov_b32 s0, 0x3fb8aa3b
	s_mov_b32 s1, 0xc2ce8ed0
	;; [unrolled: 1-line block ×3, first 2 shown]
	v_bfe_u32 v0, v0, 20, 10
	s_waitcnt vmcnt(1)
	v_max_f32_e32 v8, v3, v3
	v_max_f32_e32 v9, v2, v2
	;; [unrolled: 1-line block ×3, first 2 shown]
	v_max3_f32 v8, v8, v4, v5
	s_waitcnt vmcnt(0)
	v_max3_f32 v8, v8, v16, v17
	v_max3_f32 v9, v8, v18, v19
	ds_bpermute_b32 v10, v7, v9
	v_xor_b32_e32 v8, 16, v12
	v_cmp_lt_i32_e32 vcc, v8, v15
	v_cndmask_b32_e32 v8, v12, v8, vcc
	v_lshlrev_b32_e32 v8, 2, v8
	s_waitcnt lgkmcnt(0)
	v_max_f32_e32 v10, v10, v10
	v_max_f32_e32 v10, v9, v10
	ds_bpermute_b32 v11, v8, v10
	v_xor_b32_e32 v9, 8, v12
	v_cmp_lt_i32_e32 vcc, v9, v15
	v_cndmask_b32_e32 v9, v12, v9, vcc
	v_lshlrev_b32_e32 v9, 2, v9
	s_waitcnt lgkmcnt(0)
	v_max_f32_e32 v11, v11, v11
	v_max_f32_e32 v11, v10, v11
	;; [unrolled: 8-line block ×4, first 2 shown]
	ds_bpermute_b32 v21, v11, v20
	v_cmp_lt_i32_e32 vcc, v22, v15
	v_cndmask_b32_e32 v12, v12, v22, vcc
	v_lshlrev_b32_e32 v12, 2, v12
	s_waitcnt lgkmcnt(0)
	v_max_f32_e32 v15, v21, v21
	v_max_f32_e32 v15, v20, v15
	ds_bpermute_b32 v20, v12, v15
	v_mov_b32_e32 v21, 0x7f800000
	s_waitcnt lgkmcnt(0)
	v_max_f32_e32 v20, v20, v20
	v_max_f32_e32 v20, v15, v20
	v_pk_add_f32 v[4:5], v[4:5], v[20:21] op_sel_hi:[1,0] neg_lo:[0,1] neg_hi:[0,1]
	v_mul_f32_e32 v15, 0x3fb8aa3b, v5
	v_pk_add_f32 v[16:17], v[16:17], v[20:21] op_sel_hi:[1,0] neg_lo:[0,1] neg_hi:[0,1]
	v_mul_f32_e32 v22, 0x3fb8aa3b, v4
	v_fma_f32 v27, v5, s0, -v15
	v_rndne_f32_e32 v28, v15
	v_mul_f32_e32 v23, 0x3fb8aa3b, v17
	v_fma_f32 v29, v4, s0, -v22
	v_rndne_f32_e32 v30, v22
	v_fmac_f32_e32 v27, 0x32a5705f, v5
	v_sub_f32_e32 v15, v15, v28
	v_mul_f32_e32 v24, 0x3fb8aa3b, v16
	v_fma_f32 v31, v17, s0, -v23
	v_rndne_f32_e32 v32, v23
	v_fmac_f32_e32 v29, 0x32a5705f, v4
	v_sub_f32_e32 v22, v22, v30
	v_add_f32_e32 v15, v15, v27
	v_fma_f32 v33, v16, s0, -v24
	v_rndne_f32_e32 v34, v24
	v_cvt_i32_f32_e32 v28, v28
	v_fmac_f32_e32 v31, 0x32a5705f, v17
	v_sub_f32_e32 v23, v23, v32
	v_add_f32_e32 v22, v22, v29
	v_exp_f32_e32 v15, v15
	v_cvt_i32_f32_e32 v30, v30
	v_fmac_f32_e32 v33, 0x32a5705f, v16
	v_sub_f32_e32 v24, v24, v34
	v_add_f32_e32 v23, v23, v31
	v_exp_f32_e32 v22, v22
	v_cvt_i32_f32_e32 v32, v32
	v_add_f32_e32 v24, v24, v33
	v_exp_f32_e32 v23, v23
	v_cvt_i32_f32_e32 v34, v34
	v_exp_f32_e32 v24, v24
	v_ldexp_f32 v15, v15, v28
	v_cmp_ngt_f32_e32 vcc, s1, v5
	v_pk_add_f32 v[18:19], v[18:19], v[20:21] op_sel_hi:[1,0] neg_lo:[0,1] neg_hi:[0,1]
	v_ldexp_f32 v22, v22, v30
	v_cndmask_b32_e32 v15, 0, v15, vcc
	v_cmp_ngt_f32_e32 vcc, s1, v4
	v_mul_f32_e32 v25, 0x3fb8aa3b, v19
	v_ldexp_f32 v23, v23, v32
	v_cndmask_b32_e32 v22, 0, v22, vcc
	v_cmp_ngt_f32_e32 vcc, s1, v17
	v_fma_f32 v35, v19, s0, -v25
	v_rndne_f32_e32 v36, v25
	v_ldexp_f32 v24, v24, v34
	v_cndmask_b32_e32 v23, 0, v23, vcc
	v_cmp_ngt_f32_e32 vcc, s1, v16
	v_mul_f32_e32 v26, 0x3fb8aa3b, v18
	v_fmac_f32_e32 v35, 0x32a5705f, v19
	v_sub_f32_e32 v25, v25, v36
	v_cndmask_b32_e32 v24, 0, v24, vcc
	v_cmp_nlt_f32_e32 vcc, s2, v5
	v_fma_f32 v37, v18, s0, -v26
	v_rndne_f32_e32 v38, v26
	v_add_f32_e32 v25, v25, v35
	v_cndmask_b32_e32 v5, v21, v15, vcc
	v_cmp_nlt_f32_e32 vcc, s2, v4
	v_pk_add_f32 v[2:3], v[2:3], v[20:21] op_sel_hi:[1,0] neg_lo:[0,1] neg_hi:[0,1]
	v_cvt_i32_f32_e32 v36, v36
	v_fmac_f32_e32 v37, 0x32a5705f, v18
	v_sub_f32_e32 v26, v26, v38
	v_exp_f32_e32 v25, v25
	v_cndmask_b32_e32 v4, v21, v22, vcc
	v_cmp_nlt_f32_e32 vcc, s2, v17
	v_mul_f32_e32 v20, 0x3fb8aa3b, v3
	v_add_f32_e32 v26, v26, v37
	v_cndmask_b32_e32 v17, v21, v23, vcc
	v_fma_f32 v22, v3, s0, -v20
	v_rndne_f32_e32 v23, v20
	v_cvt_i32_f32_e32 v38, v38
	v_exp_f32_e32 v26, v26
	v_fmac_f32_e32 v22, 0x32a5705f, v3
	v_sub_f32_e32 v20, v20, v23
	v_cmp_nlt_f32_e32 vcc, s2, v16
	v_add_f32_e32 v20, v20, v22
	v_ldexp_f32 v25, v25, v36
	v_cndmask_b32_e32 v16, v21, v24, vcc
	v_cmp_ngt_f32_e32 vcc, s1, v19
	v_exp_f32_e32 v20, v20
	v_cvt_i32_f32_e32 v22, v23
	v_cndmask_b32_e32 v15, 0, v25, vcc
	v_cmp_nlt_f32_e32 vcc, s2, v19
	v_cndmask_b32_e32 v19, v21, v15, vcc
	v_ldexp_f32 v15, v26, v38
	v_cmp_ngt_f32_e32 vcc, s1, v18
	v_cndmask_b32_e32 v15, 0, v15, vcc
	v_cmp_nlt_f32_e32 vcc, s2, v18
	v_cndmask_b32_e32 v18, v21, v15, vcc
	v_ldexp_f32 v15, v20, v22
	v_mul_f32_e32 v20, 0x3fb8aa3b, v2
	v_fma_f32 v22, v2, s0, -v20
	v_rndne_f32_e32 v23, v20
	v_fmac_f32_e32 v22, 0x32a5705f, v2
	v_sub_f32_e32 v20, v20, v23
	v_add_f32_e32 v20, v20, v22
	v_exp_f32_e32 v20, v20
	v_cvt_i32_f32_e32 v22, v23
	v_cmp_ngt_f32_e32 vcc, s1, v3
	v_cndmask_b32_e32 v15, 0, v15, vcc
	v_cmp_nlt_f32_e32 vcc, s2, v3
	v_cndmask_b32_e32 v3, v21, v15, vcc
	v_ldexp_f32 v15, v20, v22
	v_cmp_ngt_f32_e32 vcc, s1, v2
	v_cndmask_b32_e32 v15, 0, v15, vcc
	v_cmp_nlt_f32_e32 vcc, s2, v2
	v_cndmask_b32_e32 v2, v21, v15, vcc
	v_add_f32_e32 v15, v2, v3
	v_add_f32_e32 v15, v15, v4
	;; [unrolled: 1-line block ×7, first 2 shown]
	ds_bpermute_b32 v20, v7, v15
	s_load_dwordx2 s[0:1], s[4:5], 0x4
	s_load_dwordx4 s[8:11], s[6:7], 0x30
	s_waitcnt lgkmcnt(0)
	s_mov_b32 s11, 0
	v_add_f32_e32 v15, v15, v20
	ds_bpermute_b32 v20, v8, v15
	s_lshr_b32 s0, s0, 16
	s_mul_i32 s0, s0, s1
	v_mul_lo_u32 v13, s0, v13
	v_mad_u32_u24 v13, v14, s1, v13
	s_waitcnt lgkmcnt(0)
	v_add_f32_e32 v15, v15, v20
	ds_bpermute_b32 v20, v9, v15
	v_add_lshl_u32 v0, v13, v0, 5
	s_cmp_lt_i32 s8, 1
	s_waitcnt lgkmcnt(0)
	v_add_f32_e32 v15, v15, v20
	ds_bpermute_b32 v20, v10, v15
	s_waitcnt lgkmcnt(0)
	v_add_f32_e32 v15, v15, v20
	ds_bpermute_b32 v20, v11, v15
	;; [unrolled: 3-line block ×3, first 2 shown]
	s_waitcnt lgkmcnt(0)
	v_add_f32_e32 v14, v15, v20
	v_div_scale_f32 v15, s[0:1], v14, v14, 1.0
	v_rcp_f32_e32 v20, v15
	v_fma_f32 v13, -v15, v20, 1.0
	v_fmac_f32_e32 v20, v13, v20
	v_div_scale_f32 v13, vcc, 1.0, v14, 1.0
	v_mul_f32_e32 v21, v13, v20
	v_fma_f32 v22, -v15, v21, v13
	v_fmac_f32_e32 v21, v22, v20
	v_fma_f32 v13, -v15, v21, v13
	v_div_fmas_f32 v13, v13, v20, v21
	v_div_fixup_f32 v14, v13, v14, 1.0
	v_pk_mul_f32 v[2:3], v[14:15], v[2:3] op_sel_hi:[0,1]
	v_pk_mul_f32 v[4:5], v[14:15], v[4:5] op_sel_hi:[0,1]
	ds_write_b128 v0, v[2:5]
	v_pk_mul_f32 v[2:3], v[14:15], v[16:17] op_sel_hi:[0,1]
	v_pk_mul_f32 v[4:5], v[14:15], v[18:19] op_sel_hi:[0,1]
	ds_write_b128 v0, v[2:5] offset:16
	s_cbranch_scc1 .LBB42_35
; %bb.5:
	s_load_dwordx4 s[4:7], s[6:7], 0x20
	v_lshlrev_b32_e32 v2, 2, v6
	v_cmp_eq_u32_e32 vcc, 0, v6
	v_mul_lo_u32 v3, v1, s8
	v_mov_b32_e32 v4, 0xc61c4000
	v_mov_b32_e32 v5, 0x100
	;; [unrolled: 1-line block ×3, first 2 shown]
	v_bfrev_b32_e32 v14, 4.0
	v_bfrev_b32_e32 v15, -4.0
	v_mov_b32_e32 v16, 0x200
	s_branch .LBB42_7
.LBB42_6:                               ;   in Loop: Header=BB42_7 Depth=1
	s_or_b64 exec, exec, s[0:1]
	s_cmp_lg_u32 s8, s11
	v_add_u32_e32 v1, s20, v1
	s_cbranch_scc0 .LBB42_35
.LBB42_7:                               ; =>This Inner Loop Header: Depth=1
	ds_read_b128 v[18:21], v0
	ds_read_b128 v[22:25], v0 offset:16
	s_waitcnt lgkmcnt(0)
	v_cmp_gt_f32_e64 s[0:1], v19, v18
	v_cndmask_b32_e64 v17, v18, v19, s[0:1]
	v_cndmask_b32_e64 v18, 0, 1, s[0:1]
	v_cmp_gt_f32_e64 s[0:1], v20, v17
	v_cndmask_b32_e64 v17, v17, v20, s[0:1]
	v_cndmask_b32_e64 v18, v18, 2, s[0:1]
	;; [unrolled: 3-line block ×7, first 2 shown]
	ds_bpermute_b32 v19, v7, v18
	v_or_b32_e32 v17, v2, v17
	ds_bpermute_b32 v20, v7, v17
	s_waitcnt lgkmcnt(1)
	v_cmp_lt_f32_e64 s[16:17], v18, v19
	v_cmp_nlt_f32_e64 s[0:1], v18, v19
	s_and_saveexec_b64 s[18:19], s[0:1]
	s_cbranch_execz .LBB42_9
; %bb.8:                                ;   in Loop: Header=BB42_7 Depth=1
	v_cmp_eq_f32_e64 s[0:1], v18, v19
	s_waitcnt lgkmcnt(0)
	v_cmp_lt_i32_e64 s[2:3], v20, v17
	s_and_b64 s[0:1], s[0:1], s[2:3]
	s_andn2_b64 s[2:3], s[16:17], exec
	s_and_b64 s[0:1], s[0:1], exec
	s_or_b64 s[16:17], s[2:3], s[0:1]
.LBB42_9:                               ;   in Loop: Header=BB42_7 Depth=1
	s_or_b64 exec, exec, s[18:19]
	s_and_saveexec_b64 s[0:1], s[16:17]
	s_cbranch_execz .LBB42_11
; %bb.10:                               ;   in Loop: Header=BB42_7 Depth=1
	v_mov_b32_e32 v18, v19
	s_waitcnt lgkmcnt(0)
	v_mov_b32_e32 v17, v20
.LBB42_11:                              ;   in Loop: Header=BB42_7 Depth=1
	s_or_b64 exec, exec, s[0:1]
	s_waitcnt lgkmcnt(0)
	ds_bpermute_b32 v20, v8, v18
	ds_bpermute_b32 v19, v8, v17
	s_waitcnt lgkmcnt(1)
	v_cmp_lt_f32_e64 s[16:17], v18, v20
	v_cmp_nlt_f32_e64 s[0:1], v18, v20
	s_and_saveexec_b64 s[18:19], s[0:1]
	s_cbranch_execz .LBB42_13
; %bb.12:                               ;   in Loop: Header=BB42_7 Depth=1
	v_cmp_eq_f32_e64 s[0:1], v18, v20
	s_waitcnt lgkmcnt(0)
	v_cmp_lt_i32_e64 s[2:3], v19, v17
	s_and_b64 s[0:1], s[0:1], s[2:3]
	s_andn2_b64 s[2:3], s[16:17], exec
	s_and_b64 s[0:1], s[0:1], exec
	s_or_b64 s[16:17], s[2:3], s[0:1]
.LBB42_13:                              ;   in Loop: Header=BB42_7 Depth=1
	s_or_b64 exec, exec, s[18:19]
	s_and_saveexec_b64 s[0:1], s[16:17]
	s_cbranch_execz .LBB42_15
; %bb.14:                               ;   in Loop: Header=BB42_7 Depth=1
	v_mov_b32_e32 v18, v20
	s_waitcnt lgkmcnt(0)
	v_mov_b32_e32 v17, v19
.LBB42_15:                              ;   in Loop: Header=BB42_7 Depth=1
	s_or_b64 exec, exec, s[0:1]
	ds_bpermute_b32 v20, v9, v18
	s_waitcnt lgkmcnt(1)
	ds_bpermute_b32 v19, v9, v17
	s_waitcnt lgkmcnt(1)
	v_cmp_lt_f32_e64 s[16:17], v18, v20
	v_cmp_nlt_f32_e64 s[0:1], v18, v20
	s_and_saveexec_b64 s[18:19], s[0:1]
	s_cbranch_execz .LBB42_17
; %bb.16:                               ;   in Loop: Header=BB42_7 Depth=1
	v_cmp_eq_f32_e64 s[0:1], v18, v20
	s_waitcnt lgkmcnt(0)
	v_cmp_lt_i32_e64 s[2:3], v19, v17
	s_and_b64 s[0:1], s[0:1], s[2:3]
	s_andn2_b64 s[2:3], s[16:17], exec
	s_and_b64 s[0:1], s[0:1], exec
	s_or_b64 s[16:17], s[2:3], s[0:1]
.LBB42_17:                              ;   in Loop: Header=BB42_7 Depth=1
	s_or_b64 exec, exec, s[18:19]
	s_and_saveexec_b64 s[0:1], s[16:17]
	s_cbranch_execz .LBB42_19
; %bb.18:                               ;   in Loop: Header=BB42_7 Depth=1
	v_mov_b32_e32 v18, v20
	s_waitcnt lgkmcnt(0)
	v_mov_b32_e32 v17, v19
.LBB42_19:                              ;   in Loop: Header=BB42_7 Depth=1
	s_or_b64 exec, exec, s[0:1]
	ds_bpermute_b32 v20, v10, v18
	s_waitcnt lgkmcnt(1)
	;; [unrolled: 26-line block ×3, first 2 shown]
	ds_bpermute_b32 v19, v11, v17
	s_waitcnt lgkmcnt(1)
	v_cmp_lt_f32_e64 s[16:17], v18, v20
	v_cmp_nlt_f32_e64 s[0:1], v18, v20
	s_and_saveexec_b64 s[18:19], s[0:1]
	s_cbranch_execz .LBB42_25
; %bb.24:                               ;   in Loop: Header=BB42_7 Depth=1
	v_cmp_eq_f32_e64 s[0:1], v18, v20
	s_waitcnt lgkmcnt(0)
	v_cmp_lt_i32_e64 s[2:3], v19, v17
	s_and_b64 s[0:1], s[0:1], s[2:3]
	s_andn2_b64 s[2:3], s[16:17], exec
	s_and_b64 s[0:1], s[0:1], exec
	s_or_b64 s[16:17], s[2:3], s[0:1]
.LBB42_25:                              ;   in Loop: Header=BB42_7 Depth=1
	s_or_b64 exec, exec, s[18:19]
	s_and_saveexec_b64 s[0:1], s[16:17]
	s_cbranch_execz .LBB42_27
; %bb.26:                               ;   in Loop: Header=BB42_7 Depth=1
	v_mov_b32_e32 v18, v20
	s_waitcnt lgkmcnt(0)
	v_mov_b32_e32 v17, v19
.LBB42_27:                              ;   in Loop: Header=BB42_7 Depth=1
	s_or_b64 exec, exec, s[0:1]
	s_waitcnt lgkmcnt(0)
	ds_bpermute_b32 v19, v12, v18
	ds_bpermute_b32 v20, v12, v17
	s_waitcnt lgkmcnt(1)
	v_cmp_lt_f32_e64 s[16:17], v18, v19
	v_cmp_nlt_f32_e64 s[0:1], v18, v19
	s_and_saveexec_b64 s[18:19], s[0:1]
	s_cbranch_execnz .LBB42_33
; %bb.28:                               ;   in Loop: Header=BB42_7 Depth=1
	s_or_b64 exec, exec, s[18:19]
	s_and_saveexec_b64 s[0:1], s[16:17]
	s_cbranch_execnz .LBB42_34
.LBB42_29:                              ;   in Loop: Header=BB42_7 Depth=1
	s_or_b64 exec, exec, s[0:1]
	s_and_saveexec_b64 s[16:17], vcc
	s_cbranch_execz .LBB42_31
.LBB42_30:                              ;   in Loop: Header=BB42_7 Depth=1
	s_waitcnt lgkmcnt(0)
	v_add_u32_e32 v20, s11, v3
	v_ashrrev_i32_e32 v21, 31, v20
	v_cmp_le_i32_e64 s[0:1], s9, v17
	v_cmp_gt_i32_e64 s[2:3], s10, v17
	v_lshlrev_b64 v[20:21], 2, v[20:21]
	s_and_b64 s[2:3], s[0:1], s[2:3]
	v_mov_b32_e32 v19, s13
	v_add_co_u32_e64 v22, s[0:1], s12, v20
	v_addc_co_u32_e64 v23, s[0:1], v19, v21, s[0:1]
	global_store_dword v[22:23], v18, off
	v_subrev_u32_e32 v18, s9, v17
	s_and_b64 s[0:1], s[14:15], s[2:3]
	v_cndmask_b32_e64 v22, v16, v18, s[0:1]
	v_mov_b32_e32 v19, s5
	v_add_co_u32_e64 v18, s[0:1], s4, v20
	v_addc_co_u32_e64 v19, s[0:1], v19, v21, s[0:1]
	global_store_dword v[18:19], v22, off
	v_mov_b32_e32 v19, s7
	v_add_co_u32_e64 v18, s[0:1], s6, v20
	v_addc_co_u32_e64 v19, s[0:1], v19, v21, s[0:1]
	global_store_dword v[18:19], v1, off
.LBB42_31:                              ;   in Loop: Header=BB42_7 Depth=1
	s_or_b64 exec, exec, s[16:17]
	v_ashrrev_i32_e32 v18, 31, v17
	v_lshrrev_b32_e32 v19, 30, v18
	s_waitcnt lgkmcnt(0)
	v_add_u32_e32 v20, v17, v19
	v_ashrrev_i32_e32 v19, 2, v20
	v_ashrrev_i32_e32 v20, 31, v20
	v_lshrrev_b32_e32 v20, 26, v20
	v_add_u32_e32 v20, v19, v20
	s_add_i32 s11, s11, 1
	v_and_b32_e32 v20, 0xffffffc0, v20
	s_cmp_lt_i32 s11, s8
	v_sub_u32_e32 v20, v19, v20
	s_cselect_b64 s[2:3], -1, 0
	v_cmp_eq_u32_e64 s[0:1], v6, v20
	s_and_b64 s[2:3], s[2:3], s[0:1]
	s_and_saveexec_b64 s[0:1], s[2:3]
	s_cbranch_execz .LBB42_6
; %bb.32:                               ;   in Loop: Header=BB42_7 Depth=1
	v_add_u32_sdwa v18, v17, v18 dst_sel:DWORD dst_unused:UNUSED_PAD src0_sel:DWORD src1_sel:BYTE_3
	v_lshlrev_b32_e32 v19, 2, v19
	v_ashrrev_i32_e32 v18, 8, v18
	v_sub_u32_e32 v17, v17, v19
	v_lshl_add_u32 v17, v18, 2, v17
	v_lshl_add_u32 v17, v17, 2, v0
	ds_write_b32 v17, v4
	s_branch .LBB42_6
.LBB42_33:                              ;   in Loop: Header=BB42_7 Depth=1
	v_cmp_eq_f32_e64 s[0:1], v18, v19
	s_waitcnt lgkmcnt(0)
	v_cmp_lt_i32_e64 s[2:3], v20, v17
	s_and_b64 s[0:1], s[0:1], s[2:3]
	s_andn2_b64 s[2:3], s[16:17], exec
	s_and_b64 s[0:1], s[0:1], exec
	s_or_b64 s[16:17], s[2:3], s[0:1]
	s_or_b64 exec, exec, s[18:19]
	s_and_saveexec_b64 s[0:1], s[16:17]
	s_cbranch_execz .LBB42_29
.LBB42_34:                              ;   in Loop: Header=BB42_7 Depth=1
	v_mov_b32_e32 v18, v19
	s_waitcnt lgkmcnt(0)
	v_mov_b32_e32 v17, v20
	s_or_b64 exec, exec, s[0:1]
	s_and_saveexec_b64 s[16:17], vcc
	s_cbranch_execnz .LBB42_30
	s_branch .LBB42_31
.LBB42_35:
	s_endpgm
	.section	.rodata,"a",@progbits
	.p2align	6, 0x0
	.amdhsa_kernel _ZN4vllm3moe17topkGatingSoftmaxILi8ELi512ELi4ELi16ELi64EjEEvPKfPKbPfiPT4_Piiii
		.amdhsa_group_segment_fixed_size 8192
		.amdhsa_private_segment_fixed_size 0
		.amdhsa_kernarg_size 60
		.amdhsa_user_sgpr_count 8
		.amdhsa_user_sgpr_private_segment_buffer 1
		.amdhsa_user_sgpr_dispatch_ptr 1
		.amdhsa_user_sgpr_queue_ptr 0
		.amdhsa_user_sgpr_kernarg_segment_ptr 1
		.amdhsa_user_sgpr_dispatch_id 0
		.amdhsa_user_sgpr_flat_scratch_init 0
		.amdhsa_user_sgpr_kernarg_preload_length 0
		.amdhsa_user_sgpr_kernarg_preload_offset 0
		.amdhsa_user_sgpr_private_segment_size 0
		.amdhsa_uses_dynamic_stack 0
		.amdhsa_system_sgpr_private_segment_wavefront_offset 0
		.amdhsa_system_sgpr_workgroup_id_x 1
		.amdhsa_system_sgpr_workgroup_id_y 0
		.amdhsa_system_sgpr_workgroup_id_z 0
		.amdhsa_system_sgpr_workgroup_info 0
		.amdhsa_system_vgpr_workitem_id 2
		.amdhsa_next_free_vgpr 39
		.amdhsa_next_free_sgpr 21
		.amdhsa_accum_offset 40
		.amdhsa_reserve_vcc 1
		.amdhsa_reserve_flat_scratch 0
		.amdhsa_float_round_mode_32 0
		.amdhsa_float_round_mode_16_64 0
		.amdhsa_float_denorm_mode_32 3
		.amdhsa_float_denorm_mode_16_64 3
		.amdhsa_dx10_clamp 1
		.amdhsa_ieee_mode 1
		.amdhsa_fp16_overflow 0
		.amdhsa_tg_split 0
		.amdhsa_exception_fp_ieee_invalid_op 0
		.amdhsa_exception_fp_denorm_src 0
		.amdhsa_exception_fp_ieee_div_zero 0
		.amdhsa_exception_fp_ieee_overflow 0
		.amdhsa_exception_fp_ieee_underflow 0
		.amdhsa_exception_fp_ieee_inexact 0
		.amdhsa_exception_int_div_zero 0
	.end_amdhsa_kernel
	.section	.text._ZN4vllm3moe17topkGatingSoftmaxILi8ELi512ELi4ELi16ELi64EjEEvPKfPKbPfiPT4_Piiii,"axG",@progbits,_ZN4vllm3moe17topkGatingSoftmaxILi8ELi512ELi4ELi16ELi64EjEEvPKfPKbPfiPT4_Piiii,comdat
.Lfunc_end42:
	.size	_ZN4vllm3moe17topkGatingSoftmaxILi8ELi512ELi4ELi16ELi64EjEEvPKfPKbPfiPT4_Piiii, .Lfunc_end42-_ZN4vllm3moe17topkGatingSoftmaxILi8ELi512ELi4ELi16ELi64EjEEvPKfPKbPfiPT4_Piiii
                                        ; -- End function
	.section	.AMDGPU.csdata,"",@progbits
; Kernel info:
; codeLenInByte = 2652
; NumSgprs: 25
; NumVgprs: 39
; NumAgprs: 0
; TotalNumVgprs: 39
; ScratchSize: 0
; MemoryBound: 0
; FloatMode: 240
; IeeeMode: 1
; LDSByteSize: 8192 bytes/workgroup (compile time only)
; SGPRBlocks: 3
; VGPRBlocks: 4
; NumSGPRsForWavesPerEU: 25
; NumVGPRsForWavesPerEU: 39
; AccumOffset: 40
; Occupancy: 8
; WaveLimiterHint : 0
; COMPUTE_PGM_RSRC2:SCRATCH_EN: 0
; COMPUTE_PGM_RSRC2:USER_SGPR: 8
; COMPUTE_PGM_RSRC2:TRAP_HANDLER: 0
; COMPUTE_PGM_RSRC2:TGID_X_EN: 1
; COMPUTE_PGM_RSRC2:TGID_Y_EN: 0
; COMPUTE_PGM_RSRC2:TGID_Z_EN: 0
; COMPUTE_PGM_RSRC2:TIDIG_COMP_CNT: 2
; COMPUTE_PGM_RSRC3_GFX90A:ACCUM_OFFSET: 9
; COMPUTE_PGM_RSRC3_GFX90A:TG_SPLIT: 0
	.section	.text._ZN4vllm3moe17topkGatingSoftmaxILi16ELi512ELi4ELi16ELi32EjEEvPKfPKbPfiPT4_Piiii,"axG",@progbits,_ZN4vllm3moe17topkGatingSoftmaxILi16ELi512ELi4ELi16ELi32EjEEvPKfPKbPfiPT4_Piiii,comdat
	.protected	_ZN4vllm3moe17topkGatingSoftmaxILi16ELi512ELi4ELi16ELi32EjEEvPKfPKbPfiPT4_Piiii ; -- Begin function _ZN4vllm3moe17topkGatingSoftmaxILi16ELi512ELi4ELi16ELi32EjEEvPKfPKbPfiPT4_Piiii
	.globl	_ZN4vllm3moe17topkGatingSoftmaxILi16ELi512ELi4ELi16ELi32EjEEvPKfPKbPfiPT4_Piiii
	.p2align	8
	.type	_ZN4vllm3moe17topkGatingSoftmaxILi16ELi512ELi4ELi16ELi32EjEEvPKfPKbPfiPT4_Piiii,@function
_ZN4vllm3moe17topkGatingSoftmaxILi16ELi512ELi4ELi16ELi32EjEEvPKfPKbPfiPT4_Piiii: ; @_ZN4vllm3moe17topkGatingSoftmaxILi16ELi512ELi4ELi16ELi32EjEEvPKfPKbPfiPT4_Piiii
; %bb.0:
	s_load_dword s24, s[4:5], 0x18
	s_add_u32 s0, s0, s9
	v_and_b32_e32 v1, 0x3ff, v0
	s_addc_u32 s1, s1, 0
	s_lshl_b32 s6, s8, 2
	v_lshrrev_b32_e32 v2, 5, v1
	v_bfe_u32 v0, v0, 10, 10
	v_add3_u32 v17, s6, v0, v2
	s_waitcnt lgkmcnt(0)
	v_cmp_gt_i32_e32 vcc, s24, v17
	s_and_saveexec_b64 s[6:7], vcc
	s_cbranch_execz .LBB43_31
; %bb.1:
	s_load_dwordx4 s[8:11], s[4:5], 0x0
	s_load_dwordx2 s[16:17], s[4:5], 0x10
	s_waitcnt lgkmcnt(0)
	s_cmp_eq_u64 s[10:11], 0
	s_cbranch_scc1 .LBB43_3
; %bb.2:
	v_ashrrev_i32_e32 v0, 31, v17
	v_mov_b32_e32 v3, s11
	v_add_co_u32_e32 v2, vcc, s10, v17
	v_addc_co_u32_e32 v3, vcc, v3, v0, vcc
	global_load_ubyte v0, v[2:3], off
	s_waitcnt vmcnt(0)
	v_and_b32_e32 v0, 1, v0
	v_cmp_eq_u32_e32 vcc, 1, v0
	s_xor_b64 s[6:7], vcc, -1
	s_orn2_b64 s[18:19], s[6:7], exec
	s_branch .LBB43_4
.LBB43_3:
	s_mov_b64 s[18:19], -1
.LBB43_4:
	v_lshlrev_b32_e32 v2, 9, v17
	v_ashrrev_i32_e32 v3, 31, v2
	v_lshlrev_b64 v[2:3], 2, v[2:3]
	v_mov_b32_e32 v0, s9
	v_add_co_u32_e32 v2, vcc, s8, v2
	v_and_b32_e32 v24, 31, v1
	v_addc_co_u32_e32 v0, vcc, v0, v3, vcc
	v_lshlrev_b32_e32 v1, 4, v24
	v_add_co_u32_e32 v18, vcc, v2, v1
	v_addc_co_u32_e32 v19, vcc, 0, v0, vcc
	global_load_dwordx4 v[0:3], v[18:19], off
	global_load_dwordx4 v[4:7], v[18:19], off offset:512
	global_load_dwordx4 v[8:11], v[18:19], off offset:1024
	;; [unrolled: 1-line block ×3, first 2 shown]
	v_mbcnt_lo_u32_b32 v16, -1, 0
	v_mbcnt_hi_u32_b32 v16, -1, v16
	v_and_b32_e32 v18, 0x60, v16
	v_xor_b32_e32 v19, 16, v16
	v_add_u32_e32 v18, 32, v18
	v_cmp_lt_i32_e32 vcc, v19, v18
	v_cndmask_b32_e32 v19, v16, v19, vcc
	v_lshlrev_b32_e32 v25, 2, v19
	v_xor_b32_e32 v21, 8, v16
	v_cmp_lt_i32_e32 vcc, v21, v18
	v_cndmask_b32_e32 v21, v16, v21, vcc
	v_lshlrev_b32_e32 v26, 2, v21
	v_xor_b32_e32 v21, 4, v16
	;; [unrolled: 4-line block ×4, first 2 shown]
	v_cmp_lt_i32_e32 vcc, v21, v18
	v_cndmask_b32_e32 v16, v16, v21, vcc
	v_lshlrev_b32_e32 v29, 2, v16
	s_mov_b32 s7, 0x3fb8aa3b
	s_mov_b32 s6, 0xc2ce8ed0
	;; [unrolled: 1-line block ×3, first 2 shown]
	v_mov_b32_e32 v40, 0x7f800000
	s_waitcnt vmcnt(3)
	buffer_store_dword v3, off, s[0:3], 0 offset:12
	buffer_store_dword v2, off, s[0:3], 0 offset:8
	v_max_f32_e32 v19, v1, v1
	v_max_f32_e32 v20, v0, v0
	;; [unrolled: 1-line block ×3, first 2 shown]
	v_max3_f32 v19, v19, v2, v3
	s_waitcnt vmcnt(4)
	v_max3_f32 v19, v19, v4, v5
	v_max3_f32 v19, v19, v6, v7
	s_waitcnt vmcnt(3)
	v_max3_f32 v19, v19, v8, v9
	;; [unrolled: 3-line block ×3, first 2 shown]
	v_max3_f32 v19, v19, v14, v15
	ds_bpermute_b32 v20, v25, v19
	buffer_store_dword v1, off, s[0:3], 0 offset:4
	buffer_store_dword v0, off, s[0:3], 0
	buffer_store_dword v7, off, s[0:3], 0 offset:28
	buffer_store_dword v6, off, s[0:3], 0 offset:24
	;; [unrolled: 1-line block ×12, first 2 shown]
	s_waitcnt lgkmcnt(0)
	v_max_f32_e32 v20, v20, v20
	v_max_f32_e32 v19, v19, v20
	ds_bpermute_b32 v20, v26, v19
	s_waitcnt lgkmcnt(0)
	v_max_f32_e32 v20, v20, v20
	v_max_f32_e32 v19, v19, v20
	ds_bpermute_b32 v20, v27, v19
	;; [unrolled: 4-line block ×4, first 2 shown]
	s_waitcnt lgkmcnt(0)
	v_max_f32_e32 v18, v18, v18
	v_max_f32_e32 v16, v16, v18
	v_pk_add_f32 v[18:19], v[2:3], v[16:17] op_sel_hi:[1,0] neg_lo:[0,1] neg_hi:[0,1]
	v_mul_f32_e32 v30, 0x3fb8aa3b, v19
	v_pk_add_f32 v[20:21], v[4:5], v[16:17] op_sel_hi:[1,0] neg_lo:[0,1] neg_hi:[0,1]
	v_mul_f32_e32 v31, 0x3fb8aa3b, v18
	v_fma_f32 v36, v19, s7, -v30
	v_rndne_f32_e32 v37, v30
	v_mul_f32_e32 v32, 0x3fb8aa3b, v21
	v_fma_f32 v38, v18, s7, -v31
	v_rndne_f32_e32 v39, v31
	v_fmac_f32_e32 v36, 0x32a5705f, v19
	v_sub_f32_e32 v30, v30, v37
	v_mul_f32_e32 v33, 0x3fb8aa3b, v20
	v_fma_f32 v41, v21, s7, -v32
	v_rndne_f32_e32 v42, v32
	v_fmac_f32_e32 v38, 0x32a5705f, v18
	v_sub_f32_e32 v31, v31, v39
	v_add_f32_e32 v30, v30, v36
	v_fma_f32 v43, v20, s7, -v33
	v_rndne_f32_e32 v44, v33
	v_cvt_i32_f32_e32 v37, v37
	v_fmac_f32_e32 v41, 0x32a5705f, v21
	v_sub_f32_e32 v32, v32, v42
	v_add_f32_e32 v31, v31, v38
	v_exp_f32_e32 v30, v30
	v_cvt_i32_f32_e32 v39, v39
	v_fmac_f32_e32 v43, 0x32a5705f, v20
	v_sub_f32_e32 v33, v33, v44
	v_add_f32_e32 v32, v32, v41
	v_exp_f32_e32 v31, v31
	v_cvt_i32_f32_e32 v42, v42
	v_add_f32_e32 v33, v33, v43
	v_exp_f32_e32 v32, v32
	v_pk_add_f32 v[22:23], v[6:7], v[16:17] op_sel_hi:[1,0] neg_lo:[0,1] neg_hi:[0,1]
	v_cvt_i32_f32_e32 v44, v44
	v_exp_f32_e32 v33, v33
	v_mul_f32_e32 v34, 0x3fb8aa3b, v23
	v_ldexp_f32 v30, v30, v37
	v_cmp_ngt_f32_e32 vcc, s6, v19
	v_fma_f32 v45, v23, s7, -v34
	v_rndne_f32_e32 v46, v34
	v_ldexp_f32 v31, v31, v39
	v_cndmask_b32_e32 v30, 0, v30, vcc
	v_cmp_ngt_f32_e32 vcc, s6, v18
	v_mul_f32_e32 v35, 0x3fb8aa3b, v22
	v_fmac_f32_e32 v45, 0x32a5705f, v23
	v_sub_f32_e32 v34, v34, v46
	v_ldexp_f32 v32, v32, v42
	v_cndmask_b32_e32 v31, 0, v31, vcc
	v_cmp_ngt_f32_e32 vcc, s6, v21
	v_fma_f32 v47, v22, s7, -v35
	v_rndne_f32_e32 v48, v35
	v_add_f32_e32 v34, v34, v45
	v_ldexp_f32 v33, v33, v44
	v_cndmask_b32_e32 v32, 0, v32, vcc
	v_cmp_ngt_f32_e32 vcc, s6, v20
	v_cvt_i32_f32_e32 v46, v46
	v_fmac_f32_e32 v47, 0x32a5705f, v22
	v_sub_f32_e32 v35, v35, v48
	v_exp_f32_e32 v34, v34
	v_cndmask_b32_e32 v33, 0, v33, vcc
	v_cmp_nlt_f32_e32 vcc, s8, v19
	v_add_f32_e32 v35, v35, v47
	v_cndmask_b32_e32 v19, v40, v30, vcc
	v_cmp_nlt_f32_e32 vcc, s8, v18
	v_cndmask_b32_e32 v18, v40, v31, vcc
	v_cmp_nlt_f32_e32 vcc, s8, v21
	v_exp_f32_e32 v30, v35
	v_cvt_i32_f32_e32 v31, v48
	v_cndmask_b32_e32 v21, v40, v32, vcc
	v_cmp_nlt_f32_e32 vcc, s8, v20
	v_ldexp_f32 v34, v34, v46
	v_cndmask_b32_e32 v20, v40, v33, vcc
	v_cmp_ngt_f32_e32 vcc, s6, v23
	v_cndmask_b32_e32 v32, 0, v34, vcc
	v_cmp_nlt_f32_e32 vcc, s8, v23
	v_cndmask_b32_e32 v23, v40, v32, vcc
	v_ldexp_f32 v32, v30, v31
	v_pk_add_f32 v[30:31], v[8:9], v[16:17] op_sel_hi:[1,0] neg_lo:[0,1] neg_hi:[0,1]
	v_mul_f32_e32 v33, 0x3fb8aa3b, v31
	v_fma_f32 v34, v31, s7, -v33
	v_rndne_f32_e32 v35, v33
	v_fmac_f32_e32 v34, 0x32a5705f, v31
	v_sub_f32_e32 v33, v33, v35
	v_add_f32_e32 v33, v33, v34
	v_exp_f32_e32 v33, v33
	v_cvt_i32_f32_e32 v34, v35
	v_cmp_ngt_f32_e32 vcc, s6, v22
	v_cndmask_b32_e32 v32, 0, v32, vcc
	v_cmp_nlt_f32_e32 vcc, s8, v22
	v_cndmask_b32_e32 v22, v40, v32, vcc
	v_ldexp_f32 v32, v33, v34
	v_mul_f32_e32 v33, 0x3fb8aa3b, v30
	v_fma_f32 v34, v30, s7, -v33
	v_rndne_f32_e32 v35, v33
	v_fmac_f32_e32 v34, 0x32a5705f, v30
	v_sub_f32_e32 v33, v33, v35
	v_add_f32_e32 v33, v33, v34
	v_exp_f32_e32 v33, v33
	v_cvt_i32_f32_e32 v34, v35
	v_cmp_ngt_f32_e32 vcc, s6, v31
	v_cndmask_b32_e32 v32, 0, v32, vcc
	v_cmp_nlt_f32_e32 vcc, s8, v31
	v_cndmask_b32_e32 v31, v40, v32, vcc
	v_ldexp_f32 v34, v33, v34
	v_pk_add_f32 v[32:33], v[10:11], v[16:17] op_sel_hi:[1,0] neg_lo:[0,1] neg_hi:[0,1]
	v_mul_f32_e32 v35, 0x3fb8aa3b, v33
	v_fma_f32 v36, v33, s7, -v35
	v_rndne_f32_e32 v37, v35
	v_fmac_f32_e32 v36, 0x32a5705f, v33
	v_sub_f32_e32 v35, v35, v37
	v_add_f32_e32 v35, v35, v36
	v_exp_f32_e32 v35, v35
	v_cvt_i32_f32_e32 v36, v37
	v_cmp_ngt_f32_e32 vcc, s6, v30
	v_cndmask_b32_e32 v34, 0, v34, vcc
	v_cmp_nlt_f32_e32 vcc, s8, v30
	v_cndmask_b32_e32 v30, v40, v34, vcc
	v_ldexp_f32 v34, v35, v36
	v_mul_f32_e32 v35, 0x3fb8aa3b, v32
	v_fma_f32 v36, v32, s7, -v35
	v_rndne_f32_e32 v37, v35
	v_fmac_f32_e32 v36, 0x32a5705f, v32
	v_sub_f32_e32 v35, v35, v37
	v_add_f32_e32 v35, v35, v36
	v_exp_f32_e32 v35, v35
	v_cvt_i32_f32_e32 v36, v37
	;; [unrolled: 27-line block ×4, first 2 shown]
	v_cmp_ngt_f32_e32 vcc, s6, v37
	v_cndmask_b32_e32 v38, 0, v38, vcc
	v_cmp_nlt_f32_e32 vcc, s8, v37
	v_cndmask_b32_e32 v37, v40, v38, vcc
	v_ldexp_f32 v41, v39, v41
	v_pk_add_f32 v[38:39], v[14:15], v[16:17] op_sel_hi:[1,0] neg_lo:[0,1] neg_hi:[0,1]
	v_mul_f32_e32 v16, 0x3fb8aa3b, v39
	v_fma_f32 v42, v39, s7, -v16
	v_rndne_f32_e32 v43, v16
	v_fmac_f32_e32 v42, 0x32a5705f, v39
	v_sub_f32_e32 v16, v16, v43
	v_add_f32_e32 v16, v16, v42
	v_exp_f32_e32 v16, v16
	v_cvt_i32_f32_e32 v42, v43
	v_cmp_ngt_f32_e32 vcc, s6, v36
	v_cndmask_b32_e32 v41, 0, v41, vcc
	v_cmp_nlt_f32_e32 vcc, s8, v36
	v_cndmask_b32_e32 v36, v40, v41, vcc
	v_mul_f32_e32 v41, 0x3fb8aa3b, v38
	v_ldexp_f32 v16, v16, v42
	v_fma_f32 v42, v38, s7, -v41
	v_rndne_f32_e32 v43, v41
	v_fmac_f32_e32 v42, 0x32a5705f, v38
	v_sub_f32_e32 v41, v41, v43
	v_add_f32_e32 v41, v41, v42
	v_exp_f32_e32 v41, v41
	v_cvt_i32_f32_e32 v42, v43
	v_cmp_ngt_f32_e32 vcc, s6, v39
	v_cndmask_b32_e32 v16, 0, v16, vcc
	v_cmp_nlt_f32_e32 vcc, s8, v39
	v_cndmask_b32_e32 v39, v40, v16, vcc
	v_ldexp_f32 v16, v41, v42
	v_cmp_ngt_f32_e32 vcc, s6, v38
	v_cndmask_b32_e32 v16, 0, v16, vcc
	v_cmp_nlt_f32_e32 vcc, s8, v38
	v_cndmask_b32_e32 v38, v40, v16, vcc
	v_add_f32_e32 v16, v34, v35
	v_add_f32_e32 v16, v16, v18
	;; [unrolled: 1-line block ×15, first 2 shown]
	ds_bpermute_b32 v40, v25, v16
	s_load_dwordx4 s[8:11], s[4:5], 0x30
	s_waitcnt lgkmcnt(0)
	s_mov_b32 s11, 0
	v_add_f32_e32 v16, v16, v40
	ds_bpermute_b32 v40, v26, v16
	s_cmp_lt_i32 s8, 1
	s_waitcnt lgkmcnt(0)
	v_add_f32_e32 v2, v16, v40
	ds_bpermute_b32 v3, v27, v2
	s_waitcnt lgkmcnt(0)
	v_add_f32_e32 v0, v2, v3
	ds_bpermute_b32 v1, v28, v0
	;; [unrolled: 3-line block ×3, first 2 shown]
	s_waitcnt lgkmcnt(0)
	v_add_f32_e32 v0, v0, v1
	v_div_scale_f32 v1, s[6:7], v0, v0, 1.0
	v_rcp_f32_e32 v2, v1
	v_fma_f32 v3, -v1, v2, 1.0
	v_fmac_f32_e32 v2, v3, v2
	v_div_scale_f32 v3, vcc, 1.0, v0, 1.0
	v_mul_f32_e32 v4, v3, v2
	v_fma_f32 v5, -v1, v4, v3
	v_fmac_f32_e32 v4, v5, v2
	v_fma_f32 v1, -v1, v4, v3
	v_div_fmas_f32 v1, v1, v2, v4
	v_div_fixup_f32 v0, v1, v0, 1.0
	v_pk_mul_f32 v[2:3], v[0:1], v[34:35] op_sel_hi:[0,1]
	buffer_store_dword v3, off, s[0:3], 0 offset:4
	buffer_store_dword v2, off, s[0:3], 0
	v_pk_mul_f32 v[2:3], v[0:1], v[18:19] op_sel_hi:[0,1]
	buffer_store_dword v3, off, s[0:3], 0 offset:12
	buffer_store_dword v2, off, s[0:3], 0 offset:8
	v_pk_mul_f32 v[2:3], v[0:1], v[20:21] op_sel_hi:[0,1]
	buffer_store_dword v3, off, s[0:3], 0 offset:20
	buffer_store_dword v2, off, s[0:3], 0 offset:16
	;; [unrolled: 3-line block ×5, first 2 shown]
	v_pk_mul_f32 v[2:3], v[0:1], v[36:37] op_sel_hi:[0,1]
	v_pk_mul_f32 v[0:1], v[0:1], v[38:39] op_sel_hi:[0,1]
	buffer_store_dword v3, off, s[0:3], 0 offset:52
	buffer_store_dword v2, off, s[0:3], 0 offset:48
	;; [unrolled: 1-line block ×4, first 2 shown]
	s_cbranch_scc1 .LBB43_31
; %bb.5:
	s_load_dwordx4 s[12:15], s[4:5], 0x20
	v_lshlrev_b32_e32 v0, 2, v24
	v_cmp_eq_u32_e32 vcc, 0, v24
	v_mul_lo_u32 v1, v17, s8
	v_mov_b32_e32 v2, 0
	v_mov_b32_e32 v3, 0xc61c4000
	;; [unrolled: 1-line block ×8, first 2 shown]
	v_bfrev_b32_e32 v10, 4.0
	v_bfrev_b32_e32 v11, -4.0
	v_mov_b32_e32 v12, 0x180
	v_mov_b32_e32 v13, 0x181
	;; [unrolled: 1-line block ×5, first 2 shown]
	s_branch .LBB43_7
.LBB43_6:                               ;   in Loop: Header=BB43_7 Depth=1
	s_or_b64 exec, exec, s[4:5]
	s_cmp_eq_u32 s8, s11
	v_add_u32_e32 v17, s24, v17
	s_cbranch_scc1 .LBB43_31
.LBB43_7:                               ; =>This Inner Loop Header: Depth=1
	buffer_load_dword v18, off, s[0:3], 0
	buffer_load_dword v19, off, s[0:3], 0 offset:4
	buffer_load_dword v20, off, s[0:3], 0 offset:8
	;; [unrolled: 1-line block ×15, first 2 shown]
	s_waitcnt vmcnt(14)
	v_cmp_gt_f32_e64 s[4:5], v19, v18
	v_cndmask_b32_e64 v18, v18, v19, s[4:5]
	v_cndmask_b32_e64 v19, 0, 1, s[4:5]
	s_waitcnt vmcnt(13)
	v_cmp_gt_f32_e64 s[4:5], v20, v18
	v_cndmask_b32_e64 v18, v18, v20, s[4:5]
	v_cndmask_b32_e64 v19, v19, 2, s[4:5]
	;; [unrolled: 4-line block ×15, first 2 shown]
	ds_bpermute_b32 v20, v25, v19
	v_or_b32_e32 v18, v0, v18
	ds_bpermute_b32 v21, v25, v18
	s_waitcnt lgkmcnt(0)
	v_cmp_lt_f32_e64 s[20:21], v19, v20
	v_cmp_nlt_f32_e64 s[4:5], v19, v20
	s_and_saveexec_b64 s[22:23], s[4:5]
; %bb.8:                                ;   in Loop: Header=BB43_7 Depth=1
	v_cmp_eq_f32_e64 s[4:5], v19, v20
	v_cmp_lt_i32_e64 s[6:7], v21, v18
	s_and_b64 s[4:5], s[4:5], s[6:7]
	s_andn2_b64 s[6:7], s[20:21], exec
	s_and_b64 s[4:5], s[4:5], exec
	s_or_b64 s[20:21], s[6:7], s[4:5]
; %bb.9:                                ;   in Loop: Header=BB43_7 Depth=1
	s_or_b64 exec, exec, s[22:23]
	s_and_saveexec_b64 s[4:5], s[20:21]
; %bb.10:                               ;   in Loop: Header=BB43_7 Depth=1
	v_mov_b32_e32 v19, v20
	v_mov_b32_e32 v18, v21
; %bb.11:                               ;   in Loop: Header=BB43_7 Depth=1
	s_or_b64 exec, exec, s[4:5]
	ds_bpermute_b32 v21, v26, v19
	ds_bpermute_b32 v20, v26, v18
	s_waitcnt lgkmcnt(1)
	v_cmp_lt_f32_e64 s[20:21], v19, v21
	v_cmp_nlt_f32_e64 s[4:5], v19, v21
	s_and_saveexec_b64 s[22:23], s[4:5]
	s_cbranch_execz .LBB43_13
; %bb.12:                               ;   in Loop: Header=BB43_7 Depth=1
	v_cmp_eq_f32_e64 s[4:5], v19, v21
	s_waitcnt lgkmcnt(0)
	v_cmp_lt_i32_e64 s[6:7], v20, v18
	s_and_b64 s[4:5], s[4:5], s[6:7]
	s_andn2_b64 s[6:7], s[20:21], exec
	s_and_b64 s[4:5], s[4:5], exec
	s_or_b64 s[20:21], s[6:7], s[4:5]
.LBB43_13:                              ;   in Loop: Header=BB43_7 Depth=1
	s_or_b64 exec, exec, s[22:23]
	s_and_saveexec_b64 s[4:5], s[20:21]
	s_cbranch_execz .LBB43_15
; %bb.14:                               ;   in Loop: Header=BB43_7 Depth=1
	v_mov_b32_e32 v19, v21
	s_waitcnt lgkmcnt(0)
	v_mov_b32_e32 v18, v20
.LBB43_15:                              ;   in Loop: Header=BB43_7 Depth=1
	s_or_b64 exec, exec, s[4:5]
	ds_bpermute_b32 v21, v27, v19
	s_waitcnt lgkmcnt(1)
	ds_bpermute_b32 v20, v27, v18
	s_waitcnt lgkmcnt(1)
	v_cmp_lt_f32_e64 s[20:21], v19, v21
	v_cmp_nlt_f32_e64 s[4:5], v19, v21
	s_and_saveexec_b64 s[22:23], s[4:5]
	s_cbranch_execz .LBB43_17
; %bb.16:                               ;   in Loop: Header=BB43_7 Depth=1
	v_cmp_eq_f32_e64 s[4:5], v19, v21
	s_waitcnt lgkmcnt(0)
	v_cmp_lt_i32_e64 s[6:7], v20, v18
	s_and_b64 s[4:5], s[4:5], s[6:7]
	s_andn2_b64 s[6:7], s[20:21], exec
	s_and_b64 s[4:5], s[4:5], exec
	s_or_b64 s[20:21], s[6:7], s[4:5]
.LBB43_17:                              ;   in Loop: Header=BB43_7 Depth=1
	s_or_b64 exec, exec, s[22:23]
	s_and_saveexec_b64 s[4:5], s[20:21]
	s_cbranch_execz .LBB43_19
; %bb.18:                               ;   in Loop: Header=BB43_7 Depth=1
	v_mov_b32_e32 v19, v21
	s_waitcnt lgkmcnt(0)
	v_mov_b32_e32 v18, v20
.LBB43_19:                              ;   in Loop: Header=BB43_7 Depth=1
	s_or_b64 exec, exec, s[4:5]
	ds_bpermute_b32 v21, v28, v19
	s_waitcnt lgkmcnt(1)
	ds_bpermute_b32 v20, v28, v18
	s_waitcnt lgkmcnt(1)
	v_cmp_lt_f32_e64 s[20:21], v19, v21
	v_cmp_nlt_f32_e64 s[4:5], v19, v21
	s_and_saveexec_b64 s[22:23], s[4:5]
	s_cbranch_execz .LBB43_21
; %bb.20:                               ;   in Loop: Header=BB43_7 Depth=1
	v_cmp_eq_f32_e64 s[4:5], v19, v21
	s_waitcnt lgkmcnt(0)
	v_cmp_lt_i32_e64 s[6:7], v20, v18
	s_and_b64 s[4:5], s[4:5], s[6:7]
	s_andn2_b64 s[6:7], s[20:21], exec
	s_and_b64 s[4:5], s[4:5], exec
	s_or_b64 s[20:21], s[6:7], s[4:5]
.LBB43_21:                              ;   in Loop: Header=BB43_7 Depth=1
	s_or_b64 exec, exec, s[22:23]
	s_and_saveexec_b64 s[4:5], s[20:21]
	s_cbranch_execz .LBB43_23
; %bb.22:                               ;   in Loop: Header=BB43_7 Depth=1
	v_mov_b32_e32 v19, v21
	s_waitcnt lgkmcnt(0)
	v_mov_b32_e32 v18, v20
.LBB43_23:                              ;   in Loop: Header=BB43_7 Depth=1
	s_or_b64 exec, exec, s[4:5]
	s_waitcnt lgkmcnt(0)
	ds_bpermute_b32 v20, v29, v19
	ds_bpermute_b32 v21, v29, v18
	s_waitcnt lgkmcnt(1)
	v_cmp_lt_f32_e64 s[20:21], v19, v20
	v_cmp_nlt_f32_e64 s[4:5], v19, v20
	s_and_saveexec_b64 s[22:23], s[4:5]
	s_cbranch_execnz .LBB43_29
; %bb.24:                               ;   in Loop: Header=BB43_7 Depth=1
	s_or_b64 exec, exec, s[22:23]
	s_and_saveexec_b64 s[4:5], s[20:21]
	s_cbranch_execnz .LBB43_30
.LBB43_25:                              ;   in Loop: Header=BB43_7 Depth=1
	s_or_b64 exec, exec, s[4:5]
	s_and_saveexec_b64 s[20:21], vcc
	s_cbranch_execz .LBB43_27
.LBB43_26:                              ;   in Loop: Header=BB43_7 Depth=1
	v_add_u32_e32 v20, s11, v1
	s_waitcnt lgkmcnt(0)
	v_ashrrev_i32_e32 v21, 31, v20
	v_cmp_le_i32_e64 s[4:5], s9, v18
	v_cmp_gt_i32_e64 s[6:7], s10, v18
	v_lshlrev_b64 v[20:21], 2, v[20:21]
	s_and_b64 s[6:7], s[4:5], s[6:7]
	v_mov_b32_e32 v23, s17
	v_add_co_u32_e64 v22, s[4:5], s16, v20
	v_addc_co_u32_e64 v23, s[4:5], v23, v21, s[4:5]
	global_store_dword v[22:23], v19, off
	v_subrev_u32_e32 v19, s9, v18
	s_and_b64 s[4:5], s[18:19], s[6:7]
	v_cndmask_b32_e64 v19, v16, v19, s[4:5]
	v_mov_b32_e32 v23, s13
	v_add_co_u32_e64 v22, s[4:5], s12, v20
	v_addc_co_u32_e64 v23, s[4:5], v23, v21, s[4:5]
	global_store_dword v[22:23], v19, off
	v_mov_b32_e32 v19, s15
	v_add_co_u32_e64 v20, s[4:5], s14, v20
	v_addc_co_u32_e64 v21, s[4:5], v19, v21, s[4:5]
	global_store_dword v[20:21], v17, off
.LBB43_27:                              ;   in Loop: Header=BB43_7 Depth=1
	s_or_b64 exec, exec, s[20:21]
	v_ashrrev_i32_e32 v20, 31, v18
	v_lshrrev_b32_e32 v19, 30, v20
	s_waitcnt lgkmcnt(0)
	v_add_u32_e32 v21, v18, v19
	v_ashrrev_i32_e32 v19, 2, v21
	v_ashrrev_i32_e32 v21, 31, v21
	v_lshrrev_b32_e32 v21, 27, v21
	v_add_u32_e32 v21, v19, v21
	s_add_i32 s11, s11, 1
	v_and_b32_e32 v21, 0xffffffe0, v21
	s_cmp_lt_i32 s11, s8
	v_sub_u32_e32 v21, v19, v21
	s_cselect_b64 s[6:7], -1, 0
	v_cmp_eq_u32_e64 s[4:5], v24, v21
	s_and_b64 s[6:7], s[6:7], s[4:5]
	s_and_saveexec_b64 s[4:5], s[6:7]
	s_cbranch_execz .LBB43_6
; %bb.28:                               ;   in Loop: Header=BB43_7 Depth=1
	v_lshrrev_b32_e32 v20, 25, v20
	v_add_u32_e32 v20, v18, v20
	v_lshlrev_b32_e32 v19, 2, v19
	v_ashrrev_i32_e32 v20, 7, v20
	v_sub_u32_e32 v18, v18, v19
	v_lshl_add_u32 v18, v20, 2, v18
	v_lshl_add_u32 v18, v18, 2, v2
	buffer_store_dword v3, v18, s[0:3], 0 offen
	s_branch .LBB43_6
.LBB43_29:                              ;   in Loop: Header=BB43_7 Depth=1
	v_cmp_eq_f32_e64 s[4:5], v19, v20
	s_waitcnt lgkmcnt(0)
	v_cmp_lt_i32_e64 s[6:7], v21, v18
	s_and_b64 s[4:5], s[4:5], s[6:7]
	s_andn2_b64 s[6:7], s[20:21], exec
	s_and_b64 s[4:5], s[4:5], exec
	s_or_b64 s[20:21], s[6:7], s[4:5]
	s_or_b64 exec, exec, s[22:23]
	s_and_saveexec_b64 s[4:5], s[20:21]
	s_cbranch_execz .LBB43_25
.LBB43_30:                              ;   in Loop: Header=BB43_7 Depth=1
	v_mov_b32_e32 v19, v20
	s_waitcnt lgkmcnt(0)
	v_mov_b32_e32 v18, v21
	s_or_b64 exec, exec, s[4:5]
	s_and_saveexec_b64 s[20:21], vcc
	s_cbranch_execnz .LBB43_26
	s_branch .LBB43_27
.LBB43_31:
	s_endpgm
	.section	.rodata,"a",@progbits
	.p2align	6, 0x0
	.amdhsa_kernel _ZN4vllm3moe17topkGatingSoftmaxILi16ELi512ELi4ELi16ELi32EjEEvPKfPKbPfiPT4_Piiii
		.amdhsa_group_segment_fixed_size 0
		.amdhsa_private_segment_fixed_size 80
		.amdhsa_kernarg_size 60
		.amdhsa_user_sgpr_count 8
		.amdhsa_user_sgpr_private_segment_buffer 1
		.amdhsa_user_sgpr_dispatch_ptr 0
		.amdhsa_user_sgpr_queue_ptr 0
		.amdhsa_user_sgpr_kernarg_segment_ptr 1
		.amdhsa_user_sgpr_dispatch_id 0
		.amdhsa_user_sgpr_flat_scratch_init 1
		.amdhsa_user_sgpr_kernarg_preload_length 0
		.amdhsa_user_sgpr_kernarg_preload_offset 0
		.amdhsa_user_sgpr_private_segment_size 0
		.amdhsa_uses_dynamic_stack 0
		.amdhsa_system_sgpr_private_segment_wavefront_offset 1
		.amdhsa_system_sgpr_workgroup_id_x 1
		.amdhsa_system_sgpr_workgroup_id_y 0
		.amdhsa_system_sgpr_workgroup_id_z 0
		.amdhsa_system_sgpr_workgroup_info 0
		.amdhsa_system_vgpr_workitem_id 1
		.amdhsa_next_free_vgpr 49
		.amdhsa_next_free_sgpr 25
		.amdhsa_accum_offset 52
		.amdhsa_reserve_vcc 1
		.amdhsa_reserve_flat_scratch 0
		.amdhsa_float_round_mode_32 0
		.amdhsa_float_round_mode_16_64 0
		.amdhsa_float_denorm_mode_32 3
		.amdhsa_float_denorm_mode_16_64 3
		.amdhsa_dx10_clamp 1
		.amdhsa_ieee_mode 1
		.amdhsa_fp16_overflow 0
		.amdhsa_tg_split 0
		.amdhsa_exception_fp_ieee_invalid_op 0
		.amdhsa_exception_fp_denorm_src 0
		.amdhsa_exception_fp_ieee_div_zero 0
		.amdhsa_exception_fp_ieee_overflow 0
		.amdhsa_exception_fp_ieee_underflow 0
		.amdhsa_exception_fp_ieee_inexact 0
		.amdhsa_exception_int_div_zero 0
	.end_amdhsa_kernel
	.section	.text._ZN4vllm3moe17topkGatingSoftmaxILi16ELi512ELi4ELi16ELi32EjEEvPKfPKbPfiPT4_Piiii,"axG",@progbits,_ZN4vllm3moe17topkGatingSoftmaxILi16ELi512ELi4ELi16ELi32EjEEvPKfPKbPfiPT4_Piiii,comdat
.Lfunc_end43:
	.size	_ZN4vllm3moe17topkGatingSoftmaxILi16ELi512ELi4ELi16ELi32EjEEvPKfPKbPfiPT4_Piiii, .Lfunc_end43-_ZN4vllm3moe17topkGatingSoftmaxILi16ELi512ELi4ELi16ELi32EjEEvPKfPKbPfiPT4_Piiii
                                        ; -- End function
	.section	.AMDGPU.csdata,"",@progbits
; Kernel info:
; codeLenInByte = 3796
; NumSgprs: 29
; NumVgprs: 49
; NumAgprs: 0
; TotalNumVgprs: 49
; ScratchSize: 80
; MemoryBound: 0
; FloatMode: 240
; IeeeMode: 1
; LDSByteSize: 0 bytes/workgroup (compile time only)
; SGPRBlocks: 3
; VGPRBlocks: 6
; NumSGPRsForWavesPerEU: 29
; NumVGPRsForWavesPerEU: 49
; AccumOffset: 52
; Occupancy: 8
; WaveLimiterHint : 0
; COMPUTE_PGM_RSRC2:SCRATCH_EN: 1
; COMPUTE_PGM_RSRC2:USER_SGPR: 8
; COMPUTE_PGM_RSRC2:TRAP_HANDLER: 0
; COMPUTE_PGM_RSRC2:TGID_X_EN: 1
; COMPUTE_PGM_RSRC2:TGID_Y_EN: 0
; COMPUTE_PGM_RSRC2:TGID_Z_EN: 0
; COMPUTE_PGM_RSRC2:TIDIG_COMP_CNT: 1
; COMPUTE_PGM_RSRC3_GFX90A:ACCUM_OFFSET: 12
; COMPUTE_PGM_RSRC3_GFX90A:TG_SPLIT: 0
	.section	.text._ZN4vllm3moe7moeTopKILi256EjEEvPKfPKbPfPT0_Piiiii,"axG",@progbits,_ZN4vllm3moe7moeTopKILi256EjEEvPKfPKbPfPT0_Piiiii,comdat
	.protected	_ZN4vllm3moe7moeTopKILi256EjEEvPKfPKbPfPT0_Piiiii ; -- Begin function _ZN4vllm3moe7moeTopKILi256EjEEvPKfPKbPfPT0_Piiiii
	.globl	_ZN4vllm3moe7moeTopKILi256EjEEvPKfPKbPfPT0_Piiiii
	.p2align	8
	.type	_ZN4vllm3moe7moeTopKILi256EjEEvPKfPKbPfPT0_Piiiii,@function
_ZN4vllm3moe7moeTopKILi256EjEEvPKfPKbPfPT0_Piiiii: ; @_ZN4vllm3moe7moeTopKILi256EjEEvPKfPKbPfPT0_Piiiii
; %bb.0:
	s_load_dwordx8 s[16:23], s[4:5], 0x0
	s_waitcnt lgkmcnt(0)
	s_cmp_eq_u64 s[18:19], 0
	s_cbranch_scc1 .LBB44_2
; %bb.1:
	s_ashr_i32 s1, s6, 31
	s_add_u32 s0, s18, s6
	s_addc_u32 s1, s19, s1
	v_mov_b32_e32 v1, 0
	global_load_ubyte v1, v1, s[0:1]
	s_waitcnt vmcnt(0)
	v_readfirstlane_b32 s0, v1
	s_bitcmp1_b32 s0, 0
	s_cselect_b64 s[0:1], -1, 0
	s_xor_b64 s[14:15], s[0:1], -1
	s_load_dwordx4 s[24:27], s[4:5], 0x28
	s_waitcnt lgkmcnt(0)
	s_cmp_lt_i32 s25, 1
	s_cbranch_scc0 .LBB44_3
	s_branch .LBB44_21
.LBB44_2:
	s_mov_b64 s[14:15], -1
	s_load_dwordx4 s[24:27], s[4:5], 0x28
	s_waitcnt lgkmcnt(0)
	s_cmp_lt_i32 s25, 1
	s_cbranch_scc1 .LBB44_21
.LBB44_3:
	v_mbcnt_lo_u32_b32 v1, -1, 0
	v_mbcnt_hi_u32_b32 v5, -1, v1
	v_and_b32_e32 v6, 3, v5
	v_cmp_ne_u32_e32 vcc, 3, v6
	s_load_dwordx2 s[18:19], s[4:5], 0x20
	s_load_dword s7, s[4:5], 0x38
	s_mul_i32 s28, s6, s25
	v_addc_co_u32_e32 v4, vcc, 0, v5, vcc
	v_cmp_gt_u32_e32 vcc, 2, v6
	s_ashr_i32 s29, s28, 31
	v_lshlrev_b32_e32 v3, 3, v6
	v_cndmask_b32_e64 v6, 0, 1, vcc
	s_lshl_b64 s[8:9], s[28:29], 2
	v_bfrev_b32_e32 v1, 0.5
	v_lshrrev_b32_e32 v2, 3, v0
	v_lshlrev_b32_e32 v6, 1, v6
	s_add_u32 s30, s22, s8
	s_mul_i32 s33, s6, s24
	v_cmp_gt_i32_e64 s[0:1], s24, v0
	s_mov_b32 s40, 0
	v_lshl_or_b32 v1, v5, 2, v1
	v_cmp_eq_u32_e64 s[2:3], 0, v5
	v_and_b32_e32 v2, 24, v2
	v_cmp_gt_u32_e64 s[4:5], 64, v0
	v_lshlrev_b32_e32 v4, 2, v4
	v_add_lshl_u32 v5, v6, v5, 2
	v_cmp_eq_u32_e64 s[10:11], 0, v0
	s_addc_u32 s31, s23, s9
	v_mov_b32_e32 v6, 0
	s_branch .LBB44_5
.LBB44_4:                               ;   in Loop: Header=BB44_5 Depth=1
	s_or_b64 exec, exec, s[12:13]
	s_add_i32 s40, s40, 1
	s_cmp_eq_u32 s40, s25
	s_barrier
	s_cbranch_scc1 .LBB44_21
.LBB44_5:                               ; =>This Loop Header: Depth=1
                                        ;     Child Loop BB44_8 Depth 2
                                        ;       Child Loop BB44_10 Depth 3
	v_mov_b32_e32 v7, -1.0
	v_mov_b32_e32 v8, 0
	s_and_saveexec_b64 s[34:35], s[0:1]
	s_cbranch_execz .LBB44_15
; %bb.6:                                ;   in Loop: Header=BB44_5 Depth=1
	s_cmp_lg_u32 s40, 0
	s_cselect_b64 s[8:9], -1, 0
	v_cndmask_b32_e64 v9, 0, 1, s[8:9]
	s_mov_b64 s[36:37], 0
	v_mov_b32_e32 v7, -1.0
	v_mov_b32_e32 v8, 0
	v_cmp_ne_u32_e64 s[8:9], 1, v9
	v_mov_b32_e32 v9, v0
	s_branch .LBB44_8
.LBB44_7:                               ;   in Loop: Header=BB44_8 Depth=2
	s_or_b64 exec, exec, s[38:39]
	v_add_u32_e32 v9, 0x100, v9
	v_cmp_le_i32_e32 vcc, s24, v9
	s_or_b64 s[36:37], vcc, s[36:37]
	s_andn2_b64 exec, exec, s[36:37]
	s_cbranch_execz .LBB44_14
.LBB44_8:                               ;   Parent Loop BB44_5 Depth=1
                                        ; =>  This Loop Header: Depth=2
                                        ;       Child Loop BB44_10 Depth 3
	v_add_u32_e32 v10, s33, v9
	v_ashrrev_i32_e32 v11, 31, v10
	v_lshlrev_b64 v[10:11], 2, v[10:11]
	v_mov_b32_e32 v12, s17
	v_add_co_u32_e32 v10, vcc, s16, v10
	v_addc_co_u32_e32 v11, vcc, v12, v11, vcc
	global_load_dword v10, v[10:11], off
	s_and_b64 vcc, exec, s[8:9]
	s_cbranch_vccnz .LBB44_12
; %bb.9:                                ;   in Loop: Header=BB44_8 Depth=2
	s_mov_b32 s29, 0
	s_mov_b64 s[12:13], s[30:31]
	v_mov_b32_e32 v11, v9
.LBB44_10:                              ;   Parent Loop BB44_5 Depth=1
                                        ;     Parent Loop BB44_8 Depth=2
                                        ; =>    This Inner Loop Header: Depth=3
	global_load_dword v12, v6, s[12:13]
	s_add_i32 s29, s29, 1
	s_add_u32 s12, s12, 4
	s_addc_u32 s13, s13, 0
	s_cmp_ge_u32 s29, s40
	s_waitcnt vmcnt(0)
	v_cmp_eq_u32_e32 vcc, v12, v9
	v_cndmask_b32_e32 v11, v11, v8, vcc
	v_cndmask_b32_e32 v10, v10, v7, vcc
	s_cbranch_scc0 .LBB44_10
; %bb.11:                               ;   in Loop: Header=BB44_8 Depth=2
	v_cmp_ngt_f32_e32 vcc, v7, v10
	s_and_saveexec_b64 s[38:39], vcc
	s_cbranch_execz .LBB44_7
	s_branch .LBB44_13
.LBB44_12:                              ;   in Loop: Header=BB44_8 Depth=2
	v_mov_b32_e32 v11, v9
	s_waitcnt vmcnt(0)
	v_cmp_ngt_f32_e32 vcc, v7, v10
	s_and_saveexec_b64 s[38:39], vcc
	s_cbranch_execz .LBB44_7
.LBB44_13:                              ;   in Loop: Header=BB44_8 Depth=2
	v_cmp_eq_f32_e32 vcc, v10, v7
	v_cmp_lt_i32_e64 s[12:13], v8, v11
	s_and_b64 vcc, vcc, s[12:13]
	v_cndmask_b32_e32 v7, v10, v7, vcc
	v_cndmask_b32_e32 v8, v11, v8, vcc
	s_branch .LBB44_7
.LBB44_14:                              ;   in Loop: Header=BB44_5 Depth=1
	s_or_b64 exec, exec, s[36:37]
.LBB44_15:                              ;   in Loop: Header=BB44_5 Depth=1
	s_or_b64 exec, exec, s[34:35]
	v_mov_b32_dpp v9, v8 quad_perm:[1,0,3,2] row_mask:0xf bank_mask:0xf
	v_mov_b32_dpp v10, v7 quad_perm:[1,0,3,2] row_mask:0xf bank_mask:0xf
	v_cmp_eq_f32_e32 vcc, v7, v10
	v_cmp_lt_i32_e64 s[8:9], v8, v9
	s_and_b64 vcc, vcc, s[8:9]
	v_cmp_gt_f32_e64 s[8:9], v7, v10
	v_cndmask_b32_e32 v11, v10, v7, vcc
	s_or_b64 vcc, s[8:9], vcc
	v_cndmask_b32_e64 v7, v11, v7, s[8:9]
	v_cndmask_b32_e32 v8, v9, v8, vcc
	s_nop 0
	v_mov_b32_dpp v10, v7 quad_perm:[2,3,0,1] row_mask:0xf bank_mask:0xf
	v_mov_b32_dpp v9, v8 quad_perm:[2,3,0,1] row_mask:0xf bank_mask:0xf
	v_cmp_eq_f32_e32 vcc, v7, v10
	v_cmp_lt_i32_e64 s[8:9], v8, v9
	s_and_b64 vcc, vcc, s[8:9]
	v_cmp_gt_f32_e64 s[8:9], v7, v10
	v_cndmask_b32_e32 v11, v10, v7, vcc
	s_or_b64 vcc, s[8:9], vcc
	v_cndmask_b32_e64 v7, v11, v7, s[8:9]
	v_cndmask_b32_e32 v8, v9, v8, vcc
	s_nop 0
	v_mov_b32_dpp v10, v7 row_ror:4 row_mask:0xf bank_mask:0xf
	v_mov_b32_dpp v9, v8 row_ror:4 row_mask:0xf bank_mask:0xf
	v_cmp_eq_f32_e32 vcc, v7, v10
	v_cmp_lt_i32_e64 s[8:9], v8, v9
	s_and_b64 vcc, vcc, s[8:9]
	v_cmp_gt_f32_e64 s[8:9], v7, v10
	v_cndmask_b32_e32 v11, v10, v7, vcc
	s_or_b64 vcc, s[8:9], vcc
	v_cndmask_b32_e64 v7, v11, v7, s[8:9]
	v_cndmask_b32_e32 v8, v9, v8, vcc
	s_nop 0
	v_mov_b32_dpp v10, v7 row_ror:8 row_mask:0xf bank_mask:0xf
	v_mov_b32_dpp v9, v8 row_ror:8 row_mask:0xf bank_mask:0xf
	v_cmp_eq_f32_e32 vcc, v7, v10
	v_cmp_lt_i32_e64 s[8:9], v8, v9
	s_and_b64 vcc, vcc, s[8:9]
	v_cmp_gt_f32_e64 s[8:9], v7, v10
	v_cndmask_b32_e32 v11, v10, v7, vcc
	s_or_b64 vcc, s[8:9], vcc
	v_cndmask_b32_e64 v7, v11, v7, s[8:9]
	v_cndmask_b32_e32 v8, v9, v8, vcc
	s_nop 0
	v_mov_b32_dpp v10, v7 row_bcast:15 row_mask:0xf bank_mask:0xf
	v_mov_b32_dpp v9, v8 row_bcast:15 row_mask:0xf bank_mask:0xf
	v_cmp_eq_f32_e32 vcc, v7, v10
	v_cmp_lt_i32_e64 s[8:9], v8, v9
	s_and_b64 vcc, vcc, s[8:9]
	v_cmp_gt_f32_e64 s[8:9], v7, v10
	v_cndmask_b32_e32 v11, v10, v7, vcc
	s_or_b64 vcc, s[8:9], vcc
	v_cndmask_b32_e64 v7, v11, v7, s[8:9]
	v_cndmask_b32_e32 v8, v9, v8, vcc
	s_nop 0
	v_mov_b32_dpp v10, v7 row_bcast:31 row_mask:0xf bank_mask:0xf
	v_mov_b32_dpp v9, v8 row_bcast:31 row_mask:0xf bank_mask:0xf
	v_cmp_eq_f32_e32 vcc, v7, v10
	v_cmp_lt_i32_e64 s[8:9], v8, v9
	s_and_b64 vcc, vcc, s[8:9]
	v_cmp_gt_f32_e64 s[8:9], v7, v10
	v_cndmask_b32_e32 v11, v10, v7, vcc
	s_or_b64 vcc, s[8:9], vcc
	v_cndmask_b32_e64 v7, v11, v7, s[8:9]
	v_cndmask_b32_e32 v8, v9, v8, vcc
	ds_bpermute_b32 v8, v1, v8
	ds_bpermute_b32 v7, v1, v7
	s_and_saveexec_b64 s[8:9], s[2:3]
	s_cbranch_execz .LBB44_17
; %bb.16:                               ;   in Loop: Header=BB44_5 Depth=1
	s_waitcnt lgkmcnt(0)
	ds_write2_b32 v2, v8, v7 offset1:1
.LBB44_17:                              ;   in Loop: Header=BB44_5 Depth=1
	s_or_b64 exec, exec, s[8:9]
	s_waitcnt lgkmcnt(0)
	s_barrier
	s_and_saveexec_b64 s[34:35], s[4:5]
	s_cbranch_execz .LBB44_19
; %bb.18:                               ;   in Loop: Header=BB44_5 Depth=1
	ds_read2_b32 v[8:9], v3 offset1:1
	s_waitcnt lgkmcnt(0)
	ds_bpermute_b32 v7, v4, v9
	ds_bpermute_b32 v10, v4, v8
	s_waitcnt lgkmcnt(1)
	v_cmp_eq_f32_e64 s[8:9], v9, v7
	s_waitcnt lgkmcnt(0)
	v_cmp_lt_i32_e64 s[12:13], v10, v8
	v_cmp_lt_f32_e32 vcc, v9, v7
	s_and_b64 s[8:9], s[8:9], s[12:13]
	s_or_b64 vcc, vcc, s[8:9]
	v_cndmask_b32_e32 v7, v9, v7, vcc
	v_cndmask_b32_e32 v8, v8, v10, vcc
	ds_bpermute_b32 v9, v5, v7
	ds_bpermute_b32 v10, v5, v8
	s_waitcnt lgkmcnt(1)
	v_cmp_eq_f32_e64 s[8:9], v7, v9
	s_waitcnt lgkmcnt(0)
	v_cmp_lt_i32_e64 s[12:13], v10, v8
	v_cmp_lt_f32_e32 vcc, v7, v9
	s_and_b64 s[8:9], s[8:9], s[12:13]
	s_or_b64 vcc, vcc, s[8:9]
	v_cndmask_b32_e32 v7, v7, v9, vcc
	v_cndmask_b32_e32 v8, v8, v10, vcc
.LBB44_19:                              ;   in Loop: Header=BB44_5 Depth=1
	s_or_b64 exec, exec, s[34:35]
	s_and_saveexec_b64 s[12:13], s[10:11]
	s_cbranch_execz .LBB44_4
; %bb.20:                               ;   in Loop: Header=BB44_5 Depth=1
	v_cmp_le_i32_e32 vcc, s26, v8
	v_cmp_gt_i32_e64 s[8:9], s27, v8
	s_add_i32 s34, s40, s28
	s_and_b64 s[8:9], vcc, s[8:9]
	s_ashr_i32 s35, s34, 31
	s_lshl_b64 s[34:35], s[34:35], 2
	s_and_b64 vcc, s[14:15], s[8:9]
	s_add_u32 s8, s20, s34
	s_addc_u32 s9, s21, s35
	v_subrev_u32_e32 v8, s26, v8
	v_mov_b32_e32 v9, s24
	global_store_dword v6, v7, s[8:9]
	s_add_u32 s8, s22, s34
	v_cndmask_b32_e32 v7, v9, v8, vcc
	s_addc_u32 s9, s23, s35
	global_store_dword v6, v7, s[8:9]
	s_mul_i32 s8, s40, s7
	s_add_i32 s29, s8, s6
	s_add_u32 s8, s18, s34
	s_addc_u32 s9, s19, s35
	v_mov_b32_e32 v7, s29
	global_store_dword v6, v7, s[8:9]
	s_branch .LBB44_4
.LBB44_21:
	s_endpgm
	.section	.rodata,"a",@progbits
	.p2align	6, 0x0
	.amdhsa_kernel _ZN4vllm3moe7moeTopKILi256EjEEvPKfPKbPfPT0_Piiiii
		.amdhsa_group_segment_fixed_size 32
		.amdhsa_private_segment_fixed_size 0
		.amdhsa_kernarg_size 312
		.amdhsa_user_sgpr_count 6
		.amdhsa_user_sgpr_private_segment_buffer 1
		.amdhsa_user_sgpr_dispatch_ptr 0
		.amdhsa_user_sgpr_queue_ptr 0
		.amdhsa_user_sgpr_kernarg_segment_ptr 1
		.amdhsa_user_sgpr_dispatch_id 0
		.amdhsa_user_sgpr_flat_scratch_init 0
		.amdhsa_user_sgpr_kernarg_preload_length 0
		.amdhsa_user_sgpr_kernarg_preload_offset 0
		.amdhsa_user_sgpr_private_segment_size 0
		.amdhsa_uses_dynamic_stack 0
		.amdhsa_system_sgpr_private_segment_wavefront_offset 0
		.amdhsa_system_sgpr_workgroup_id_x 1
		.amdhsa_system_sgpr_workgroup_id_y 0
		.amdhsa_system_sgpr_workgroup_id_z 0
		.amdhsa_system_sgpr_workgroup_info 0
		.amdhsa_system_vgpr_workitem_id 0
		.amdhsa_next_free_vgpr 13
		.amdhsa_next_free_sgpr 41
		.amdhsa_accum_offset 16
		.amdhsa_reserve_vcc 1
		.amdhsa_reserve_flat_scratch 0
		.amdhsa_float_round_mode_32 0
		.amdhsa_float_round_mode_16_64 0
		.amdhsa_float_denorm_mode_32 3
		.amdhsa_float_denorm_mode_16_64 3
		.amdhsa_dx10_clamp 1
		.amdhsa_ieee_mode 1
		.amdhsa_fp16_overflow 0
		.amdhsa_tg_split 0
		.amdhsa_exception_fp_ieee_invalid_op 0
		.amdhsa_exception_fp_denorm_src 0
		.amdhsa_exception_fp_ieee_div_zero 0
		.amdhsa_exception_fp_ieee_overflow 0
		.amdhsa_exception_fp_ieee_underflow 0
		.amdhsa_exception_fp_ieee_inexact 0
		.amdhsa_exception_int_div_zero 0
	.end_amdhsa_kernel
	.section	.text._ZN4vllm3moe7moeTopKILi256EjEEvPKfPKbPfPT0_Piiiii,"axG",@progbits,_ZN4vllm3moe7moeTopKILi256EjEEvPKfPKbPfPT0_Piiiii,comdat
.Lfunc_end44:
	.size	_ZN4vllm3moe7moeTopKILi256EjEEvPKfPKbPfPT0_Piiiii, .Lfunc_end44-_ZN4vllm3moe7moeTopKILi256EjEEvPKfPKbPfPT0_Piiiii
                                        ; -- End function
	.section	.AMDGPU.csdata,"",@progbits
; Kernel info:
; codeLenInByte = 1248
; NumSgprs: 45
; NumVgprs: 13
; NumAgprs: 0
; TotalNumVgprs: 13
; ScratchSize: 0
; MemoryBound: 0
; FloatMode: 240
; IeeeMode: 1
; LDSByteSize: 32 bytes/workgroup (compile time only)
; SGPRBlocks: 5
; VGPRBlocks: 1
; NumSGPRsForWavesPerEU: 45
; NumVGPRsForWavesPerEU: 13
; AccumOffset: 16
; Occupancy: 8
; WaveLimiterHint : 0
; COMPUTE_PGM_RSRC2:SCRATCH_EN: 0
; COMPUTE_PGM_RSRC2:USER_SGPR: 6
; COMPUTE_PGM_RSRC2:TRAP_HANDLER: 0
; COMPUTE_PGM_RSRC2:TGID_X_EN: 1
; COMPUTE_PGM_RSRC2:TGID_Y_EN: 0
; COMPUTE_PGM_RSRC2:TGID_Z_EN: 0
; COMPUTE_PGM_RSRC2:TIDIG_COMP_CNT: 0
; COMPUTE_PGM_RSRC3_GFX90A:ACCUM_OFFSET: 3
; COMPUTE_PGM_RSRC3_GFX90A:TG_SPLIT: 0
	.section	.text._ZN4vllm3moe17topkGatingSoftmaxILi1ELi1ELi4ELi4ELi64ElEEvPKfPKbPfiPT4_Piiii,"axG",@progbits,_ZN4vllm3moe17topkGatingSoftmaxILi1ELi1ELi4ELi4ELi64ElEEvPKfPKbPfiPT4_Piiii,comdat
	.protected	_ZN4vllm3moe17topkGatingSoftmaxILi1ELi1ELi4ELi4ELi64ElEEvPKfPKbPfiPT4_Piiii ; -- Begin function _ZN4vllm3moe17topkGatingSoftmaxILi1ELi1ELi4ELi4ELi64ElEEvPKfPKbPfiPT4_Piiii
	.globl	_ZN4vllm3moe17topkGatingSoftmaxILi1ELi1ELi4ELi4ELi64ElEEvPKfPKbPfiPT4_Piiii
	.p2align	8
	.type	_ZN4vllm3moe17topkGatingSoftmaxILi1ELi1ELi4ELi4ELi64ElEEvPKfPKbPfiPT4_Piiii,@function
_ZN4vllm3moe17topkGatingSoftmaxILi1ELi1ELi4ELi4ELi64ElEEvPKfPKbPfiPT4_Piiii: ; @_ZN4vllm3moe17topkGatingSoftmaxILi1ELi1ELi4ELi4ELi64ElEEvPKfPKbPfiPT4_Piiii
; %bb.0:
	s_load_dword s12, s[4:5], 0x18
	v_bfe_u32 v1, v0, 10, 10
	s_lshl_b32 s0, s6, 8
	v_lshlrev_b32_e32 v1, 6, v1
	v_and_b32_e32 v0, 0x3ff, v0
	v_add3_u32 v0, v1, v0, s0
	s_waitcnt lgkmcnt(0)
	v_cmp_gt_i32_e32 vcc, s12, v0
	s_and_saveexec_b64 s[0:1], vcc
	s_cbranch_execz .LBB45_6
; %bb.1:
	s_load_dwordx4 s[8:11], s[4:5], 0x0
	v_ashrrev_i32_e32 v1, 31, v0
	s_waitcnt lgkmcnt(0)
	s_cmp_eq_u64 s[10:11], 0
	s_cbranch_scc1 .LBB45_3
; %bb.2:
	v_mov_b32_e32 v3, s11
	v_add_co_u32_e32 v2, vcc, s10, v0
	v_addc_co_u32_e32 v3, vcc, v3, v1, vcc
	global_load_ubyte v2, v[2:3], off
	s_waitcnt vmcnt(0)
	v_and_b32_e32 v2, 1, v2
	v_cmp_eq_u32_e32 vcc, 1, v2
	s_xor_b64 s[0:1], vcc, -1
	s_orn2_b64 s[6:7], s[0:1], exec
	s_load_dwordx4 s[0:3], s[4:5], 0x30
	s_waitcnt lgkmcnt(0)
	s_cmp_lt_i32 s0, 1
	s_cbranch_scc0 .LBB45_4
	s_branch .LBB45_6
.LBB45_3:
	s_mov_b64 s[6:7], -1
	s_load_dwordx4 s[0:3], s[4:5], 0x30
	s_waitcnt lgkmcnt(0)
	s_cmp_lt_i32 s0, 1
	s_cbranch_scc1 .LBB45_6
.LBB45_4:
	v_lshlrev_b64 v[2:3], 2, v[0:1]
	v_mov_b32_e32 v1, s9
	v_add_co_u32_e32 v2, vcc, s8, v2
	v_addc_co_u32_e32 v3, vcc, v1, v3, vcc
	global_load_dword v1, v[2:3], off
	s_cmp_lt_i32 s1, 1
	s_load_dwordx2 s[14:15], s[4:5], 0x10
	s_load_dwordx4 s[8:11], s[4:5], 0x20
	s_mov_b32 s13, 0x3fb8aa3b
	s_cselect_b64 s[4:5], -1, 0
	s_cmp_gt_i32 s2, 0
	v_mul_lo_u32 v2, v0, s0
	s_cselect_b64 s[16:17], -1, 0
	s_sub_i32 s1, 0, s1
	v_ashrrev_i32_e32 v3, 31, v2
	s_and_b64 s[4:5], s[4:5], s[16:17]
	s_ashr_i32 s2, s1, 31
	v_lshlrev_b64 v[8:9], 2, v[2:3]
	v_lshlrev_b64 v[6:7], 3, v[2:3]
	v_mov_b32_e32 v2, s1
	v_mov_b32_e32 v3, s2
	s_and_b64 vcc, s[6:7], s[4:5]
	v_cndmask_b32_e32 v3, 0, v3, vcc
	v_cndmask_b32_e32 v2, 1, v2, vcc
	s_waitcnt lgkmcnt(0)
	v_mov_b32_e32 v5, s15
	v_add_co_u32_e32 v4, vcc, s14, v8
	v_addc_co_u32_e32 v5, vcc, v5, v9, vcc
	v_mov_b32_e32 v11, s9
	v_add_co_u32_e32 v6, vcc, s8, v6
	s_mov_b32 s18, 0xc2ce8ed0
	v_addc_co_u32_e32 v7, vcc, v11, v7, vcc
	s_mov_b32 s19, 0x42b17218
	v_mov_b32_e32 v10, 0x7f800000
	v_mov_b32_e32 v12, s11
	s_mov_b32 s3, 0
	s_waitcnt vmcnt(0)
	v_sub_f32_e32 v1, v1, v1
	v_mul_f32_e32 v13, 0x3fb8aa3b, v1
	v_fma_f32 v14, v1, s13, -v13
	v_rndne_f32_e32 v15, v13
	v_fmac_f32_e32 v14, 0x32a5705f, v1
	v_sub_f32_e32 v13, v13, v15
	v_add_f32_e32 v13, v13, v14
	v_cvt_i32_f32_e32 v15, v15
	v_exp_f32_e32 v13, v13
	v_cmp_ngt_f32_e32 vcc, s18, v1
	v_ldexp_f32 v11, v13, v15
	v_cndmask_b32_e32 v11, 0, v11, vcc
	v_cmp_nlt_f32_e32 vcc, s19, v1
	v_cndmask_b32_e32 v1, v10, v11, vcc
	v_div_scale_f32 v10, s[4:5], v1, v1, 1.0
	v_rcp_f32_e32 v11, v10
	v_add_co_u32_e32 v8, vcc, s10, v8
	v_addc_co_u32_e32 v9, vcc, v12, v9, vcc
	v_fma_f32 v13, -v10, v11, 1.0
	v_div_scale_f32 v12, vcc, 1.0, v1, 1.0
	v_fmac_f32_e32 v11, v13, v11
	v_mul_f32_e32 v13, v12, v11
	v_fma_f32 v14, -v10, v13, v12
	v_fmac_f32_e32 v13, v14, v11
	v_fma_f32 v10, -v10, v13, v12
	v_div_fmas_f32 v10, v10, v11, v13
	v_div_fixup_f32 v10, v10, v1, 1.0
	v_mul_f32_e32 v1, v1, v10
	v_mov_b32_e32 v10, 0xc61c4000
.LBB45_5:                               ; =>This Inner Loop Header: Depth=1
	global_store_dword v[4:5], v1, off
	global_store_dwordx2 v[6:7], v[2:3], off
	global_store_dword v[8:9], v0, off
	v_add_co_u32_e32 v4, vcc, 4, v4
	v_addc_co_u32_e32 v5, vcc, 0, v5, vcc
	v_add_co_u32_e32 v6, vcc, 8, v6
	v_addc_co_u32_e32 v7, vcc, 0, v7, vcc
	s_add_i32 s3, s3, 1
	v_add_co_u32_e32 v8, vcc, 4, v8
	v_addc_co_u32_e32 v9, vcc, 0, v9, vcc
	s_cmp_ge_i32 s3, s0
	s_cselect_b64 vcc, -1, 0
	v_add_u32_e32 v0, s12, v0
	s_cmp_lg_u32 s0, s3
	v_cndmask_b32_e32 v1, v10, v1, vcc
	s_cbranch_scc1 .LBB45_5
.LBB45_6:
	s_endpgm
	.section	.rodata,"a",@progbits
	.p2align	6, 0x0
	.amdhsa_kernel _ZN4vllm3moe17topkGatingSoftmaxILi1ELi1ELi4ELi4ELi64ElEEvPKfPKbPfiPT4_Piiii
		.amdhsa_group_segment_fixed_size 0
		.amdhsa_private_segment_fixed_size 0
		.amdhsa_kernarg_size 60
		.amdhsa_user_sgpr_count 6
		.amdhsa_user_sgpr_private_segment_buffer 1
		.amdhsa_user_sgpr_dispatch_ptr 0
		.amdhsa_user_sgpr_queue_ptr 0
		.amdhsa_user_sgpr_kernarg_segment_ptr 1
		.amdhsa_user_sgpr_dispatch_id 0
		.amdhsa_user_sgpr_flat_scratch_init 0
		.amdhsa_user_sgpr_kernarg_preload_length 0
		.amdhsa_user_sgpr_kernarg_preload_offset 0
		.amdhsa_user_sgpr_private_segment_size 0
		.amdhsa_uses_dynamic_stack 0
		.amdhsa_system_sgpr_private_segment_wavefront_offset 0
		.amdhsa_system_sgpr_workgroup_id_x 1
		.amdhsa_system_sgpr_workgroup_id_y 0
		.amdhsa_system_sgpr_workgroup_id_z 0
		.amdhsa_system_sgpr_workgroup_info 0
		.amdhsa_system_vgpr_workitem_id 1
		.amdhsa_next_free_vgpr 16
		.amdhsa_next_free_sgpr 20
		.amdhsa_accum_offset 16
		.amdhsa_reserve_vcc 1
		.amdhsa_reserve_flat_scratch 0
		.amdhsa_float_round_mode_32 0
		.amdhsa_float_round_mode_16_64 0
		.amdhsa_float_denorm_mode_32 3
		.amdhsa_float_denorm_mode_16_64 3
		.amdhsa_dx10_clamp 1
		.amdhsa_ieee_mode 1
		.amdhsa_fp16_overflow 0
		.amdhsa_tg_split 0
		.amdhsa_exception_fp_ieee_invalid_op 0
		.amdhsa_exception_fp_denorm_src 0
		.amdhsa_exception_fp_ieee_div_zero 0
		.amdhsa_exception_fp_ieee_overflow 0
		.amdhsa_exception_fp_ieee_underflow 0
		.amdhsa_exception_fp_ieee_inexact 0
		.amdhsa_exception_int_div_zero 0
	.end_amdhsa_kernel
	.section	.text._ZN4vllm3moe17topkGatingSoftmaxILi1ELi1ELi4ELi4ELi64ElEEvPKfPKbPfiPT4_Piiii,"axG",@progbits,_ZN4vllm3moe17topkGatingSoftmaxILi1ELi1ELi4ELi4ELi64ElEEvPKfPKbPfiPT4_Piiii,comdat
.Lfunc_end45:
	.size	_ZN4vllm3moe17topkGatingSoftmaxILi1ELi1ELi4ELi4ELi64ElEEvPKfPKbPfiPT4_Piiii, .Lfunc_end45-_ZN4vllm3moe17topkGatingSoftmaxILi1ELi1ELi4ELi4ELi64ElEEvPKfPKbPfiPT4_Piiii
                                        ; -- End function
	.section	.AMDGPU.csdata,"",@progbits
; Kernel info:
; codeLenInByte = 604
; NumSgprs: 24
; NumVgprs: 16
; NumAgprs: 0
; TotalNumVgprs: 16
; ScratchSize: 0
; MemoryBound: 0
; FloatMode: 240
; IeeeMode: 1
; LDSByteSize: 0 bytes/workgroup (compile time only)
; SGPRBlocks: 2
; VGPRBlocks: 1
; NumSGPRsForWavesPerEU: 24
; NumVGPRsForWavesPerEU: 16
; AccumOffset: 16
; Occupancy: 8
; WaveLimiterHint : 0
; COMPUTE_PGM_RSRC2:SCRATCH_EN: 0
; COMPUTE_PGM_RSRC2:USER_SGPR: 6
; COMPUTE_PGM_RSRC2:TRAP_HANDLER: 0
; COMPUTE_PGM_RSRC2:TGID_X_EN: 1
; COMPUTE_PGM_RSRC2:TGID_Y_EN: 0
; COMPUTE_PGM_RSRC2:TGID_Z_EN: 0
; COMPUTE_PGM_RSRC2:TIDIG_COMP_CNT: 1
; COMPUTE_PGM_RSRC3_GFX90A:ACCUM_OFFSET: 3
; COMPUTE_PGM_RSRC3_GFX90A:TG_SPLIT: 0
	.section	.text._ZN4vllm3moe17topkGatingSoftmaxILi1ELi1ELi4ELi4ELi32ElEEvPKfPKbPfiPT4_Piiii,"axG",@progbits,_ZN4vllm3moe17topkGatingSoftmaxILi1ELi1ELi4ELi4ELi32ElEEvPKfPKbPfiPT4_Piiii,comdat
	.protected	_ZN4vllm3moe17topkGatingSoftmaxILi1ELi1ELi4ELi4ELi32ElEEvPKfPKbPfiPT4_Piiii ; -- Begin function _ZN4vllm3moe17topkGatingSoftmaxILi1ELi1ELi4ELi4ELi32ElEEvPKfPKbPfiPT4_Piiii
	.globl	_ZN4vllm3moe17topkGatingSoftmaxILi1ELi1ELi4ELi4ELi32ElEEvPKfPKbPfiPT4_Piiii
	.p2align	8
	.type	_ZN4vllm3moe17topkGatingSoftmaxILi1ELi1ELi4ELi4ELi32ElEEvPKfPKbPfiPT4_Piiii,@function
_ZN4vllm3moe17topkGatingSoftmaxILi1ELi1ELi4ELi4ELi32ElEEvPKfPKbPfiPT4_Piiii: ; @_ZN4vllm3moe17topkGatingSoftmaxILi1ELi1ELi4ELi4ELi32ElEEvPKfPKbPfiPT4_Piiii
; %bb.0:
	s_load_dword s12, s[4:5], 0x18
	v_bfe_u32 v1, v0, 10, 10
	s_lshl_b32 s0, s6, 7
	v_lshlrev_b32_e32 v1, 5, v1
	v_and_b32_e32 v0, 0x3ff, v0
	v_add3_u32 v0, v1, v0, s0
	s_waitcnt lgkmcnt(0)
	v_cmp_gt_i32_e32 vcc, s12, v0
	s_and_saveexec_b64 s[0:1], vcc
	s_cbranch_execz .LBB46_6
; %bb.1:
	s_load_dwordx4 s[8:11], s[4:5], 0x0
	v_ashrrev_i32_e32 v1, 31, v0
	s_waitcnt lgkmcnt(0)
	s_cmp_eq_u64 s[10:11], 0
	s_cbranch_scc1 .LBB46_3
; %bb.2:
	v_mov_b32_e32 v3, s11
	v_add_co_u32_e32 v2, vcc, s10, v0
	v_addc_co_u32_e32 v3, vcc, v3, v1, vcc
	global_load_ubyte v2, v[2:3], off
	s_waitcnt vmcnt(0)
	v_and_b32_e32 v2, 1, v2
	v_cmp_eq_u32_e32 vcc, 1, v2
	s_xor_b64 s[0:1], vcc, -1
	s_orn2_b64 s[6:7], s[0:1], exec
	s_load_dwordx4 s[0:3], s[4:5], 0x30
	s_waitcnt lgkmcnt(0)
	s_cmp_lt_i32 s0, 1
	s_cbranch_scc0 .LBB46_4
	s_branch .LBB46_6
.LBB46_3:
	s_mov_b64 s[6:7], -1
	s_load_dwordx4 s[0:3], s[4:5], 0x30
	s_waitcnt lgkmcnt(0)
	s_cmp_lt_i32 s0, 1
	s_cbranch_scc1 .LBB46_6
.LBB46_4:
	v_lshlrev_b64 v[2:3], 2, v[0:1]
	v_mov_b32_e32 v1, s9
	v_add_co_u32_e32 v2, vcc, s8, v2
	v_addc_co_u32_e32 v3, vcc, v1, v3, vcc
	global_load_dword v1, v[2:3], off
	s_cmp_lt_i32 s1, 1
	s_load_dwordx2 s[14:15], s[4:5], 0x10
	s_load_dwordx4 s[8:11], s[4:5], 0x20
	s_mov_b32 s13, 0x3fb8aa3b
	s_cselect_b64 s[4:5], -1, 0
	s_cmp_gt_i32 s2, 0
	v_mul_lo_u32 v2, v0, s0
	s_cselect_b64 s[16:17], -1, 0
	s_sub_i32 s1, 0, s1
	v_ashrrev_i32_e32 v3, 31, v2
	s_and_b64 s[4:5], s[4:5], s[16:17]
	s_ashr_i32 s2, s1, 31
	v_lshlrev_b64 v[8:9], 2, v[2:3]
	v_lshlrev_b64 v[6:7], 3, v[2:3]
	v_mov_b32_e32 v2, s1
	v_mov_b32_e32 v3, s2
	s_and_b64 vcc, s[6:7], s[4:5]
	v_cndmask_b32_e32 v3, 0, v3, vcc
	v_cndmask_b32_e32 v2, 1, v2, vcc
	s_waitcnt lgkmcnt(0)
	v_mov_b32_e32 v5, s15
	v_add_co_u32_e32 v4, vcc, s14, v8
	v_addc_co_u32_e32 v5, vcc, v5, v9, vcc
	v_mov_b32_e32 v11, s9
	v_add_co_u32_e32 v6, vcc, s8, v6
	s_mov_b32 s18, 0xc2ce8ed0
	v_addc_co_u32_e32 v7, vcc, v11, v7, vcc
	s_mov_b32 s19, 0x42b17218
	v_mov_b32_e32 v10, 0x7f800000
	v_mov_b32_e32 v12, s11
	s_mov_b32 s3, 0
	s_waitcnt vmcnt(0)
	v_sub_f32_e32 v1, v1, v1
	v_mul_f32_e32 v13, 0x3fb8aa3b, v1
	v_fma_f32 v14, v1, s13, -v13
	v_rndne_f32_e32 v15, v13
	v_fmac_f32_e32 v14, 0x32a5705f, v1
	v_sub_f32_e32 v13, v13, v15
	v_add_f32_e32 v13, v13, v14
	v_cvt_i32_f32_e32 v15, v15
	v_exp_f32_e32 v13, v13
	v_cmp_ngt_f32_e32 vcc, s18, v1
	v_ldexp_f32 v11, v13, v15
	v_cndmask_b32_e32 v11, 0, v11, vcc
	v_cmp_nlt_f32_e32 vcc, s19, v1
	v_cndmask_b32_e32 v1, v10, v11, vcc
	v_div_scale_f32 v10, s[4:5], v1, v1, 1.0
	v_rcp_f32_e32 v11, v10
	v_add_co_u32_e32 v8, vcc, s10, v8
	v_addc_co_u32_e32 v9, vcc, v12, v9, vcc
	v_fma_f32 v13, -v10, v11, 1.0
	v_div_scale_f32 v12, vcc, 1.0, v1, 1.0
	v_fmac_f32_e32 v11, v13, v11
	v_mul_f32_e32 v13, v12, v11
	v_fma_f32 v14, -v10, v13, v12
	v_fmac_f32_e32 v13, v14, v11
	v_fma_f32 v10, -v10, v13, v12
	v_div_fmas_f32 v10, v10, v11, v13
	v_div_fixup_f32 v10, v10, v1, 1.0
	v_mul_f32_e32 v1, v1, v10
	v_mov_b32_e32 v10, 0xc61c4000
.LBB46_5:                               ; =>This Inner Loop Header: Depth=1
	global_store_dword v[4:5], v1, off
	global_store_dwordx2 v[6:7], v[2:3], off
	global_store_dword v[8:9], v0, off
	v_add_co_u32_e32 v4, vcc, 4, v4
	v_addc_co_u32_e32 v5, vcc, 0, v5, vcc
	v_add_co_u32_e32 v6, vcc, 8, v6
	v_addc_co_u32_e32 v7, vcc, 0, v7, vcc
	s_add_i32 s3, s3, 1
	v_add_co_u32_e32 v8, vcc, 4, v8
	v_addc_co_u32_e32 v9, vcc, 0, v9, vcc
	s_cmp_ge_i32 s3, s0
	s_cselect_b64 vcc, -1, 0
	v_add_u32_e32 v0, s12, v0
	s_cmp_lg_u32 s0, s3
	v_cndmask_b32_e32 v1, v10, v1, vcc
	s_cbranch_scc1 .LBB46_5
.LBB46_6:
	s_endpgm
	.section	.rodata,"a",@progbits
	.p2align	6, 0x0
	.amdhsa_kernel _ZN4vllm3moe17topkGatingSoftmaxILi1ELi1ELi4ELi4ELi32ElEEvPKfPKbPfiPT4_Piiii
		.amdhsa_group_segment_fixed_size 0
		.amdhsa_private_segment_fixed_size 0
		.amdhsa_kernarg_size 60
		.amdhsa_user_sgpr_count 6
		.amdhsa_user_sgpr_private_segment_buffer 1
		.amdhsa_user_sgpr_dispatch_ptr 0
		.amdhsa_user_sgpr_queue_ptr 0
		.amdhsa_user_sgpr_kernarg_segment_ptr 1
		.amdhsa_user_sgpr_dispatch_id 0
		.amdhsa_user_sgpr_flat_scratch_init 0
		.amdhsa_user_sgpr_kernarg_preload_length 0
		.amdhsa_user_sgpr_kernarg_preload_offset 0
		.amdhsa_user_sgpr_private_segment_size 0
		.amdhsa_uses_dynamic_stack 0
		.amdhsa_system_sgpr_private_segment_wavefront_offset 0
		.amdhsa_system_sgpr_workgroup_id_x 1
		.amdhsa_system_sgpr_workgroup_id_y 0
		.amdhsa_system_sgpr_workgroup_id_z 0
		.amdhsa_system_sgpr_workgroup_info 0
		.amdhsa_system_vgpr_workitem_id 1
		.amdhsa_next_free_vgpr 16
		.amdhsa_next_free_sgpr 20
		.amdhsa_accum_offset 16
		.amdhsa_reserve_vcc 1
		.amdhsa_reserve_flat_scratch 0
		.amdhsa_float_round_mode_32 0
		.amdhsa_float_round_mode_16_64 0
		.amdhsa_float_denorm_mode_32 3
		.amdhsa_float_denorm_mode_16_64 3
		.amdhsa_dx10_clamp 1
		.amdhsa_ieee_mode 1
		.amdhsa_fp16_overflow 0
		.amdhsa_tg_split 0
		.amdhsa_exception_fp_ieee_invalid_op 0
		.amdhsa_exception_fp_denorm_src 0
		.amdhsa_exception_fp_ieee_div_zero 0
		.amdhsa_exception_fp_ieee_overflow 0
		.amdhsa_exception_fp_ieee_underflow 0
		.amdhsa_exception_fp_ieee_inexact 0
		.amdhsa_exception_int_div_zero 0
	.end_amdhsa_kernel
	.section	.text._ZN4vllm3moe17topkGatingSoftmaxILi1ELi1ELi4ELi4ELi32ElEEvPKfPKbPfiPT4_Piiii,"axG",@progbits,_ZN4vllm3moe17topkGatingSoftmaxILi1ELi1ELi4ELi4ELi32ElEEvPKfPKbPfiPT4_Piiii,comdat
.Lfunc_end46:
	.size	_ZN4vllm3moe17topkGatingSoftmaxILi1ELi1ELi4ELi4ELi32ElEEvPKfPKbPfiPT4_Piiii, .Lfunc_end46-_ZN4vllm3moe17topkGatingSoftmaxILi1ELi1ELi4ELi4ELi32ElEEvPKfPKbPfiPT4_Piiii
                                        ; -- End function
	.section	.AMDGPU.csdata,"",@progbits
; Kernel info:
; codeLenInByte = 604
; NumSgprs: 24
; NumVgprs: 16
; NumAgprs: 0
; TotalNumVgprs: 16
; ScratchSize: 0
; MemoryBound: 0
; FloatMode: 240
; IeeeMode: 1
; LDSByteSize: 0 bytes/workgroup (compile time only)
; SGPRBlocks: 2
; VGPRBlocks: 1
; NumSGPRsForWavesPerEU: 24
; NumVGPRsForWavesPerEU: 16
; AccumOffset: 16
; Occupancy: 8
; WaveLimiterHint : 0
; COMPUTE_PGM_RSRC2:SCRATCH_EN: 0
; COMPUTE_PGM_RSRC2:USER_SGPR: 6
; COMPUTE_PGM_RSRC2:TRAP_HANDLER: 0
; COMPUTE_PGM_RSRC2:TGID_X_EN: 1
; COMPUTE_PGM_RSRC2:TGID_Y_EN: 0
; COMPUTE_PGM_RSRC2:TGID_Z_EN: 0
; COMPUTE_PGM_RSRC2:TIDIG_COMP_CNT: 1
; COMPUTE_PGM_RSRC3_GFX90A:ACCUM_OFFSET: 3
; COMPUTE_PGM_RSRC3_GFX90A:TG_SPLIT: 0
	.section	.text._ZN4vllm3moe17topkGatingSoftmaxILi2ELi2ELi4ELi8ELi64ElEEvPKfPKbPfiPT4_Piiii,"axG",@progbits,_ZN4vllm3moe17topkGatingSoftmaxILi2ELi2ELi4ELi8ELi64ElEEvPKfPKbPfiPT4_Piiii,comdat
	.protected	_ZN4vllm3moe17topkGatingSoftmaxILi2ELi2ELi4ELi8ELi64ElEEvPKfPKbPfiPT4_Piiii ; -- Begin function _ZN4vllm3moe17topkGatingSoftmaxILi2ELi2ELi4ELi8ELi64ElEEvPKfPKbPfiPT4_Piiii
	.globl	_ZN4vllm3moe17topkGatingSoftmaxILi2ELi2ELi4ELi8ELi64ElEEvPKfPKbPfiPT4_Piiii
	.p2align	8
	.type	_ZN4vllm3moe17topkGatingSoftmaxILi2ELi2ELi4ELi8ELi64ElEEvPKfPKbPfiPT4_Piiii,@function
_ZN4vllm3moe17topkGatingSoftmaxILi2ELi2ELi4ELi8ELi64ElEEvPKfPKbPfiPT4_Piiii: ; @_ZN4vllm3moe17topkGatingSoftmaxILi2ELi2ELi4ELi8ELi64ElEEvPKfPKbPfiPT4_Piiii
; %bb.0:
	s_load_dword s12, s[4:5], 0x18
	v_bfe_u32 v1, v0, 10, 10
	s_lshl_b32 s0, s6, 8
	v_lshlrev_b32_e32 v1, 6, v1
	v_and_b32_e32 v0, 0x3ff, v0
	v_add3_u32 v8, v1, v0, s0
	s_waitcnt lgkmcnt(0)
	v_cmp_gt_i32_e32 vcc, s12, v8
	s_and_saveexec_b64 s[0:1], vcc
	s_cbranch_execz .LBB47_6
; %bb.1:
	s_load_dwordx4 s[0:3], s[4:5], 0x0
	s_waitcnt lgkmcnt(0)
	s_cmp_eq_u64 s[2:3], 0
	s_cbranch_scc1 .LBB47_3
; %bb.2:
	v_ashrrev_i32_e32 v1, 31, v8
	v_mov_b32_e32 v2, s3
	v_add_co_u32_e32 v0, vcc, s2, v8
	v_addc_co_u32_e32 v1, vcc, v2, v1, vcc
	global_load_ubyte v0, v[0:1], off
	s_waitcnt vmcnt(0)
	v_and_b32_e32 v0, 1, v0
	v_cmp_eq_u32_e32 vcc, 1, v0
	s_xor_b64 s[2:3], vcc, -1
	s_orn2_b64 s[6:7], s[2:3], exec
	s_load_dwordx4 s[8:11], s[4:5], 0x30
	s_waitcnt lgkmcnt(0)
	s_cmp_lt_i32 s8, 1
	s_cbranch_scc0 .LBB47_4
	s_branch .LBB47_6
.LBB47_3:
	s_mov_b64 s[6:7], -1
	s_load_dwordx4 s[8:11], s[4:5], 0x30
	s_waitcnt lgkmcnt(0)
	s_cmp_lt_i32 s8, 1
	s_cbranch_scc1 .LBB47_6
.LBB47_4:
	v_lshlrev_b32_e32 v0, 1, v8
	v_ashrrev_i32_e32 v1, 31, v0
	v_lshlrev_b64 v[0:1], 2, v[0:1]
	v_mov_b32_e32 v2, s1
	v_add_co_u32_e32 v0, vcc, s0, v0
	v_addc_co_u32_e32 v1, vcc, v2, v1, vcc
	global_load_dwordx2 v[2:3], v[0:1], off
	s_load_dwordx2 s[14:15], s[4:5], 0x10
	s_load_dwordx4 s[0:3], s[4:5], 0x20
	s_mov_b32 s5, 0x3fb8aa3b
	v_mul_lo_u32 v0, v8, s8
	v_ashrrev_i32_e32 v1, 31, v0
	v_lshlrev_b64 v[4:5], 2, v[0:1]
	v_lshlrev_b64 v[6:7], 3, v[0:1]
	s_waitcnt lgkmcnt(0)
	v_mov_b32_e32 v1, s15
	v_add_co_u32_e32 v0, vcc, s14, v4
	v_addc_co_u32_e32 v1, vcc, v1, v5, vcc
	v_mov_b32_e32 v12, s1
	s_mov_b32 s11, 0xc2ce8ed0
	s_mov_b32 s13, 0x42b17218
	v_mov_b32_e32 v9, 0x7f800000
	v_mov_b32_e32 v13, s3
	s_mov_b32 s4, 0
	s_waitcnt vmcnt(0)
	v_max_f32_e32 v10, v3, v3
	v_max_f32_e32 v11, v2, v2
	;; [unrolled: 1-line block ×3, first 2 shown]
	v_pk_add_f32 v[10:11], v[2:3], v[10:11] op_sel_hi:[1,0] neg_lo:[0,1] neg_hi:[0,1]
	v_mul_f32_e32 v2, 0x3fb8aa3b, v11
	v_mul_f32_e32 v3, 0x3fb8aa3b, v10
	v_fma_f32 v14, v11, s5, -v2
	v_rndne_f32_e32 v15, v2
	v_fma_f32 v16, v10, s5, -v3
	v_rndne_f32_e32 v17, v3
	v_fmac_f32_e32 v14, 0x32a5705f, v11
	v_sub_f32_e32 v2, v2, v15
	v_fmac_f32_e32 v16, 0x32a5705f, v10
	v_sub_f32_e32 v3, v3, v17
	v_add_f32_e32 v2, v2, v14
	v_cvt_i32_f32_e32 v15, v15
	v_add_f32_e32 v3, v3, v16
	v_exp_f32_e32 v14, v2
	v_cvt_i32_f32_e32 v17, v17
	v_exp_f32_e32 v16, v3
	v_add_co_u32_e32 v2, vcc, s0, v6
	v_addc_co_u32_e32 v3, vcc, v12, v7, vcc
	v_ldexp_f32 v6, v14, v15
	v_cmp_ngt_f32_e32 vcc, s11, v11
	v_ldexp_f32 v7, v16, v17
	v_cndmask_b32_e32 v6, 0, v6, vcc
	v_cmp_ngt_f32_e32 vcc, s11, v10
	v_cndmask_b32_e32 v12, 0, v7, vcc
	v_cmp_nlt_f32_e32 vcc, s13, v11
	v_cndmask_b32_e32 v7, v9, v6, vcc
	v_cmp_nlt_f32_e32 vcc, s13, v10
	v_cndmask_b32_e32 v6, v9, v12, vcc
	v_add_f32_e32 v9, v6, v7
	v_div_scale_f32 v10, s[0:1], v9, v9, 1.0
	v_rcp_f32_e32 v11, v10
	v_add_co_u32_e32 v4, vcc, s2, v4
	v_addc_co_u32_e32 v5, vcc, v13, v5, vcc
	v_fma_f32 v13, -v10, v11, 1.0
	v_div_scale_f32 v12, vcc, 1.0, v9, 1.0
	v_fmac_f32_e32 v11, v13, v11
	v_mul_f32_e32 v13, v12, v11
	v_fma_f32 v14, -v10, v13, v12
	v_fmac_f32_e32 v13, v14, v11
	v_fma_f32 v10, -v10, v13, v12
	v_div_fmas_f32 v10, v10, v11, v13
	v_div_fixup_f32 v10, v10, v9, 1.0
	v_pk_mul_f32 v[6:7], v[10:11], v[6:7] op_sel_hi:[0,1]
	v_mov_b32_e32 v9, 0xc61c4000
.LBB47_5:                               ; =>This Inner Loop Header: Depth=1
	v_cmp_gt_f32_e32 vcc, v7, v6
	v_cndmask_b32_e64 v11, 0, 1, vcc
	v_cndmask_b32_e32 v10, v6, v7, vcc
	v_cmp_le_i32_e64 s[0:1], s9, v11
	v_cmp_gt_i32_e64 s[2:3], s10, v11
	s_and_b64 s[0:1], s[0:1], s[2:3]
	global_store_dword v[0:1], v10, off
	v_subrev_u32_e32 v10, s9, v11
	v_ashrrev_i32_e32 v11, 31, v10
	s_and_b64 s[0:1], s[6:7], s[0:1]
	s_add_i32 s4, s4, 1
	v_cndmask_b32_e64 v11, 0, v11, s[0:1]
	v_cndmask_b32_e64 v10, 2, v10, s[0:1]
	s_cmp_lt_i32 s4, s8
	global_store_dwordx2 v[2:3], v[10:11], off
	global_store_dword v[4:5], v8, off
	v_cndmask_b32_e32 v10, v9, v6, vcc
	v_cndmask_b32_e32 v11, v7, v9, vcc
	s_cselect_b64 vcc, -1, 0
	v_cndmask_b32_e32 v7, v7, v11, vcc
	v_cndmask_b32_e32 v6, v6, v10, vcc
	v_add_co_u32_e32 v0, vcc, 4, v0
	v_addc_co_u32_e32 v1, vcc, 0, v1, vcc
	v_add_co_u32_e32 v2, vcc, 8, v2
	v_addc_co_u32_e32 v3, vcc, 0, v3, vcc
	v_add_co_u32_e32 v4, vcc, 4, v4
	v_add_u32_e32 v8, s12, v8
	s_cmp_lg_u32 s8, s4
	v_addc_co_u32_e32 v5, vcc, 0, v5, vcc
	s_cbranch_scc1 .LBB47_5
.LBB47_6:
	s_endpgm
	.section	.rodata,"a",@progbits
	.p2align	6, 0x0
	.amdhsa_kernel _ZN4vllm3moe17topkGatingSoftmaxILi2ELi2ELi4ELi8ELi64ElEEvPKfPKbPfiPT4_Piiii
		.amdhsa_group_segment_fixed_size 0
		.amdhsa_private_segment_fixed_size 0
		.amdhsa_kernarg_size 60
		.amdhsa_user_sgpr_count 6
		.amdhsa_user_sgpr_private_segment_buffer 1
		.amdhsa_user_sgpr_dispatch_ptr 0
		.amdhsa_user_sgpr_queue_ptr 0
		.amdhsa_user_sgpr_kernarg_segment_ptr 1
		.amdhsa_user_sgpr_dispatch_id 0
		.amdhsa_user_sgpr_flat_scratch_init 0
		.amdhsa_user_sgpr_kernarg_preload_length 0
		.amdhsa_user_sgpr_kernarg_preload_offset 0
		.amdhsa_user_sgpr_private_segment_size 0
		.amdhsa_uses_dynamic_stack 0
		.amdhsa_system_sgpr_private_segment_wavefront_offset 0
		.amdhsa_system_sgpr_workgroup_id_x 1
		.amdhsa_system_sgpr_workgroup_id_y 0
		.amdhsa_system_sgpr_workgroup_id_z 0
		.amdhsa_system_sgpr_workgroup_info 0
		.amdhsa_system_vgpr_workitem_id 1
		.amdhsa_next_free_vgpr 18
		.amdhsa_next_free_sgpr 16
		.amdhsa_accum_offset 20
		.amdhsa_reserve_vcc 1
		.amdhsa_reserve_flat_scratch 0
		.amdhsa_float_round_mode_32 0
		.amdhsa_float_round_mode_16_64 0
		.amdhsa_float_denorm_mode_32 3
		.amdhsa_float_denorm_mode_16_64 3
		.amdhsa_dx10_clamp 1
		.amdhsa_ieee_mode 1
		.amdhsa_fp16_overflow 0
		.amdhsa_tg_split 0
		.amdhsa_exception_fp_ieee_invalid_op 0
		.amdhsa_exception_fp_denorm_src 0
		.amdhsa_exception_fp_ieee_div_zero 0
		.amdhsa_exception_fp_ieee_overflow 0
		.amdhsa_exception_fp_ieee_underflow 0
		.amdhsa_exception_fp_ieee_inexact 0
		.amdhsa_exception_int_div_zero 0
	.end_amdhsa_kernel
	.section	.text._ZN4vllm3moe17topkGatingSoftmaxILi2ELi2ELi4ELi8ELi64ElEEvPKfPKbPfiPT4_Piiii,"axG",@progbits,_ZN4vllm3moe17topkGatingSoftmaxILi2ELi2ELi4ELi8ELi64ElEEvPKfPKbPfiPT4_Piiii,comdat
.Lfunc_end47:
	.size	_ZN4vllm3moe17topkGatingSoftmaxILi2ELi2ELi4ELi8ELi64ElEEvPKfPKbPfiPT4_Piiii, .Lfunc_end47-_ZN4vllm3moe17topkGatingSoftmaxILi2ELi2ELi4ELi8ELi64ElEEvPKfPKbPfiPT4_Piiii
                                        ; -- End function
	.section	.AMDGPU.csdata,"",@progbits
; Kernel info:
; codeLenInByte = 732
; NumSgprs: 20
; NumVgprs: 18
; NumAgprs: 0
; TotalNumVgprs: 18
; ScratchSize: 0
; MemoryBound: 0
; FloatMode: 240
; IeeeMode: 1
; LDSByteSize: 0 bytes/workgroup (compile time only)
; SGPRBlocks: 2
; VGPRBlocks: 2
; NumSGPRsForWavesPerEU: 20
; NumVGPRsForWavesPerEU: 18
; AccumOffset: 20
; Occupancy: 8
; WaveLimiterHint : 0
; COMPUTE_PGM_RSRC2:SCRATCH_EN: 0
; COMPUTE_PGM_RSRC2:USER_SGPR: 6
; COMPUTE_PGM_RSRC2:TRAP_HANDLER: 0
; COMPUTE_PGM_RSRC2:TGID_X_EN: 1
; COMPUTE_PGM_RSRC2:TGID_Y_EN: 0
; COMPUTE_PGM_RSRC2:TGID_Z_EN: 0
; COMPUTE_PGM_RSRC2:TIDIG_COMP_CNT: 1
; COMPUTE_PGM_RSRC3_GFX90A:ACCUM_OFFSET: 4
; COMPUTE_PGM_RSRC3_GFX90A:TG_SPLIT: 0
	.section	.text._ZN4vllm3moe17topkGatingSoftmaxILi2ELi2ELi4ELi8ELi32ElEEvPKfPKbPfiPT4_Piiii,"axG",@progbits,_ZN4vllm3moe17topkGatingSoftmaxILi2ELi2ELi4ELi8ELi32ElEEvPKfPKbPfiPT4_Piiii,comdat
	.protected	_ZN4vllm3moe17topkGatingSoftmaxILi2ELi2ELi4ELi8ELi32ElEEvPKfPKbPfiPT4_Piiii ; -- Begin function _ZN4vllm3moe17topkGatingSoftmaxILi2ELi2ELi4ELi8ELi32ElEEvPKfPKbPfiPT4_Piiii
	.globl	_ZN4vllm3moe17topkGatingSoftmaxILi2ELi2ELi4ELi8ELi32ElEEvPKfPKbPfiPT4_Piiii
	.p2align	8
	.type	_ZN4vllm3moe17topkGatingSoftmaxILi2ELi2ELi4ELi8ELi32ElEEvPKfPKbPfiPT4_Piiii,@function
_ZN4vllm3moe17topkGatingSoftmaxILi2ELi2ELi4ELi8ELi32ElEEvPKfPKbPfiPT4_Piiii: ; @_ZN4vllm3moe17topkGatingSoftmaxILi2ELi2ELi4ELi8ELi32ElEEvPKfPKbPfiPT4_Piiii
; %bb.0:
	s_load_dword s12, s[4:5], 0x18
	v_bfe_u32 v1, v0, 10, 10
	s_lshl_b32 s0, s6, 7
	v_lshlrev_b32_e32 v1, 5, v1
	v_and_b32_e32 v0, 0x3ff, v0
	v_add3_u32 v8, v1, v0, s0
	s_waitcnt lgkmcnt(0)
	v_cmp_gt_i32_e32 vcc, s12, v8
	s_and_saveexec_b64 s[0:1], vcc
	s_cbranch_execz .LBB48_6
; %bb.1:
	s_load_dwordx4 s[0:3], s[4:5], 0x0
	s_waitcnt lgkmcnt(0)
	s_cmp_eq_u64 s[2:3], 0
	s_cbranch_scc1 .LBB48_3
; %bb.2:
	v_ashrrev_i32_e32 v1, 31, v8
	v_mov_b32_e32 v2, s3
	v_add_co_u32_e32 v0, vcc, s2, v8
	v_addc_co_u32_e32 v1, vcc, v2, v1, vcc
	global_load_ubyte v0, v[0:1], off
	s_waitcnt vmcnt(0)
	v_and_b32_e32 v0, 1, v0
	v_cmp_eq_u32_e32 vcc, 1, v0
	s_xor_b64 s[2:3], vcc, -1
	s_orn2_b64 s[6:7], s[2:3], exec
	s_load_dwordx4 s[8:11], s[4:5], 0x30
	s_waitcnt lgkmcnt(0)
	s_cmp_lt_i32 s8, 1
	s_cbranch_scc0 .LBB48_4
	s_branch .LBB48_6
.LBB48_3:
	s_mov_b64 s[6:7], -1
	s_load_dwordx4 s[8:11], s[4:5], 0x30
	s_waitcnt lgkmcnt(0)
	s_cmp_lt_i32 s8, 1
	s_cbranch_scc1 .LBB48_6
.LBB48_4:
	v_lshlrev_b32_e32 v0, 1, v8
	v_ashrrev_i32_e32 v1, 31, v0
	v_lshlrev_b64 v[0:1], 2, v[0:1]
	v_mov_b32_e32 v2, s1
	v_add_co_u32_e32 v0, vcc, s0, v0
	v_addc_co_u32_e32 v1, vcc, v2, v1, vcc
	global_load_dwordx2 v[2:3], v[0:1], off
	s_load_dwordx2 s[14:15], s[4:5], 0x10
	s_load_dwordx4 s[0:3], s[4:5], 0x20
	s_mov_b32 s5, 0x3fb8aa3b
	v_mul_lo_u32 v0, v8, s8
	v_ashrrev_i32_e32 v1, 31, v0
	v_lshlrev_b64 v[4:5], 2, v[0:1]
	v_lshlrev_b64 v[6:7], 3, v[0:1]
	s_waitcnt lgkmcnt(0)
	v_mov_b32_e32 v1, s15
	v_add_co_u32_e32 v0, vcc, s14, v4
	v_addc_co_u32_e32 v1, vcc, v1, v5, vcc
	v_mov_b32_e32 v12, s1
	s_mov_b32 s11, 0xc2ce8ed0
	s_mov_b32 s13, 0x42b17218
	v_mov_b32_e32 v9, 0x7f800000
	v_mov_b32_e32 v13, s3
	s_mov_b32 s4, 0
	s_waitcnt vmcnt(0)
	v_max_f32_e32 v10, v3, v3
	v_max_f32_e32 v11, v2, v2
	;; [unrolled: 1-line block ×3, first 2 shown]
	v_pk_add_f32 v[10:11], v[2:3], v[10:11] op_sel_hi:[1,0] neg_lo:[0,1] neg_hi:[0,1]
	v_mul_f32_e32 v2, 0x3fb8aa3b, v11
	v_mul_f32_e32 v3, 0x3fb8aa3b, v10
	v_fma_f32 v14, v11, s5, -v2
	v_rndne_f32_e32 v15, v2
	v_fma_f32 v16, v10, s5, -v3
	v_rndne_f32_e32 v17, v3
	v_fmac_f32_e32 v14, 0x32a5705f, v11
	v_sub_f32_e32 v2, v2, v15
	v_fmac_f32_e32 v16, 0x32a5705f, v10
	v_sub_f32_e32 v3, v3, v17
	v_add_f32_e32 v2, v2, v14
	v_cvt_i32_f32_e32 v15, v15
	v_add_f32_e32 v3, v3, v16
	v_exp_f32_e32 v14, v2
	v_cvt_i32_f32_e32 v17, v17
	v_exp_f32_e32 v16, v3
	v_add_co_u32_e32 v2, vcc, s0, v6
	v_addc_co_u32_e32 v3, vcc, v12, v7, vcc
	v_ldexp_f32 v6, v14, v15
	v_cmp_ngt_f32_e32 vcc, s11, v11
	v_ldexp_f32 v7, v16, v17
	v_cndmask_b32_e32 v6, 0, v6, vcc
	v_cmp_ngt_f32_e32 vcc, s11, v10
	v_cndmask_b32_e32 v12, 0, v7, vcc
	v_cmp_nlt_f32_e32 vcc, s13, v11
	v_cndmask_b32_e32 v7, v9, v6, vcc
	v_cmp_nlt_f32_e32 vcc, s13, v10
	v_cndmask_b32_e32 v6, v9, v12, vcc
	v_add_f32_e32 v9, v6, v7
	v_div_scale_f32 v10, s[0:1], v9, v9, 1.0
	v_rcp_f32_e32 v11, v10
	v_add_co_u32_e32 v4, vcc, s2, v4
	v_addc_co_u32_e32 v5, vcc, v13, v5, vcc
	v_fma_f32 v13, -v10, v11, 1.0
	v_div_scale_f32 v12, vcc, 1.0, v9, 1.0
	v_fmac_f32_e32 v11, v13, v11
	v_mul_f32_e32 v13, v12, v11
	v_fma_f32 v14, -v10, v13, v12
	v_fmac_f32_e32 v13, v14, v11
	v_fma_f32 v10, -v10, v13, v12
	v_div_fmas_f32 v10, v10, v11, v13
	v_div_fixup_f32 v10, v10, v9, 1.0
	v_pk_mul_f32 v[6:7], v[10:11], v[6:7] op_sel_hi:[0,1]
	v_mov_b32_e32 v9, 0xc61c4000
.LBB48_5:                               ; =>This Inner Loop Header: Depth=1
	v_cmp_gt_f32_e32 vcc, v7, v6
	v_cndmask_b32_e64 v11, 0, 1, vcc
	v_cndmask_b32_e32 v10, v6, v7, vcc
	v_cmp_le_i32_e64 s[0:1], s9, v11
	v_cmp_gt_i32_e64 s[2:3], s10, v11
	s_and_b64 s[0:1], s[0:1], s[2:3]
	global_store_dword v[0:1], v10, off
	v_subrev_u32_e32 v10, s9, v11
	v_ashrrev_i32_e32 v11, 31, v10
	s_and_b64 s[0:1], s[6:7], s[0:1]
	s_add_i32 s4, s4, 1
	v_cndmask_b32_e64 v11, 0, v11, s[0:1]
	v_cndmask_b32_e64 v10, 2, v10, s[0:1]
	s_cmp_lt_i32 s4, s8
	global_store_dwordx2 v[2:3], v[10:11], off
	global_store_dword v[4:5], v8, off
	v_cndmask_b32_e32 v10, v9, v6, vcc
	v_cndmask_b32_e32 v11, v7, v9, vcc
	s_cselect_b64 vcc, -1, 0
	v_cndmask_b32_e32 v7, v7, v11, vcc
	v_cndmask_b32_e32 v6, v6, v10, vcc
	v_add_co_u32_e32 v0, vcc, 4, v0
	v_addc_co_u32_e32 v1, vcc, 0, v1, vcc
	v_add_co_u32_e32 v2, vcc, 8, v2
	v_addc_co_u32_e32 v3, vcc, 0, v3, vcc
	v_add_co_u32_e32 v4, vcc, 4, v4
	v_add_u32_e32 v8, s12, v8
	s_cmp_lg_u32 s8, s4
	v_addc_co_u32_e32 v5, vcc, 0, v5, vcc
	s_cbranch_scc1 .LBB48_5
.LBB48_6:
	s_endpgm
	.section	.rodata,"a",@progbits
	.p2align	6, 0x0
	.amdhsa_kernel _ZN4vllm3moe17topkGatingSoftmaxILi2ELi2ELi4ELi8ELi32ElEEvPKfPKbPfiPT4_Piiii
		.amdhsa_group_segment_fixed_size 0
		.amdhsa_private_segment_fixed_size 0
		.amdhsa_kernarg_size 60
		.amdhsa_user_sgpr_count 6
		.amdhsa_user_sgpr_private_segment_buffer 1
		.amdhsa_user_sgpr_dispatch_ptr 0
		.amdhsa_user_sgpr_queue_ptr 0
		.amdhsa_user_sgpr_kernarg_segment_ptr 1
		.amdhsa_user_sgpr_dispatch_id 0
		.amdhsa_user_sgpr_flat_scratch_init 0
		.amdhsa_user_sgpr_kernarg_preload_length 0
		.amdhsa_user_sgpr_kernarg_preload_offset 0
		.amdhsa_user_sgpr_private_segment_size 0
		.amdhsa_uses_dynamic_stack 0
		.amdhsa_system_sgpr_private_segment_wavefront_offset 0
		.amdhsa_system_sgpr_workgroup_id_x 1
		.amdhsa_system_sgpr_workgroup_id_y 0
		.amdhsa_system_sgpr_workgroup_id_z 0
		.amdhsa_system_sgpr_workgroup_info 0
		.amdhsa_system_vgpr_workitem_id 1
		.amdhsa_next_free_vgpr 18
		.amdhsa_next_free_sgpr 16
		.amdhsa_accum_offset 20
		.amdhsa_reserve_vcc 1
		.amdhsa_reserve_flat_scratch 0
		.amdhsa_float_round_mode_32 0
		.amdhsa_float_round_mode_16_64 0
		.amdhsa_float_denorm_mode_32 3
		.amdhsa_float_denorm_mode_16_64 3
		.amdhsa_dx10_clamp 1
		.amdhsa_ieee_mode 1
		.amdhsa_fp16_overflow 0
		.amdhsa_tg_split 0
		.amdhsa_exception_fp_ieee_invalid_op 0
		.amdhsa_exception_fp_denorm_src 0
		.amdhsa_exception_fp_ieee_div_zero 0
		.amdhsa_exception_fp_ieee_overflow 0
		.amdhsa_exception_fp_ieee_underflow 0
		.amdhsa_exception_fp_ieee_inexact 0
		.amdhsa_exception_int_div_zero 0
	.end_amdhsa_kernel
	.section	.text._ZN4vllm3moe17topkGatingSoftmaxILi2ELi2ELi4ELi8ELi32ElEEvPKfPKbPfiPT4_Piiii,"axG",@progbits,_ZN4vllm3moe17topkGatingSoftmaxILi2ELi2ELi4ELi8ELi32ElEEvPKfPKbPfiPT4_Piiii,comdat
.Lfunc_end48:
	.size	_ZN4vllm3moe17topkGatingSoftmaxILi2ELi2ELi4ELi8ELi32ElEEvPKfPKbPfiPT4_Piiii, .Lfunc_end48-_ZN4vllm3moe17topkGatingSoftmaxILi2ELi2ELi4ELi8ELi32ElEEvPKfPKbPfiPT4_Piiii
                                        ; -- End function
	.section	.AMDGPU.csdata,"",@progbits
; Kernel info:
; codeLenInByte = 732
; NumSgprs: 20
; NumVgprs: 18
; NumAgprs: 0
; TotalNumVgprs: 18
; ScratchSize: 0
; MemoryBound: 0
; FloatMode: 240
; IeeeMode: 1
; LDSByteSize: 0 bytes/workgroup (compile time only)
; SGPRBlocks: 2
; VGPRBlocks: 2
; NumSGPRsForWavesPerEU: 20
; NumVGPRsForWavesPerEU: 18
; AccumOffset: 20
; Occupancy: 8
; WaveLimiterHint : 0
; COMPUTE_PGM_RSRC2:SCRATCH_EN: 0
; COMPUTE_PGM_RSRC2:USER_SGPR: 6
; COMPUTE_PGM_RSRC2:TRAP_HANDLER: 0
; COMPUTE_PGM_RSRC2:TGID_X_EN: 1
; COMPUTE_PGM_RSRC2:TGID_Y_EN: 0
; COMPUTE_PGM_RSRC2:TGID_Z_EN: 0
; COMPUTE_PGM_RSRC2:TIDIG_COMP_CNT: 1
; COMPUTE_PGM_RSRC3_GFX90A:ACCUM_OFFSET: 4
; COMPUTE_PGM_RSRC3_GFX90A:TG_SPLIT: 0
	.section	.text._ZN4vllm3moe17topkGatingSoftmaxILi4ELi4ELi4ELi16ELi64ElEEvPKfPKbPfiPT4_Piiii,"axG",@progbits,_ZN4vllm3moe17topkGatingSoftmaxILi4ELi4ELi4ELi16ELi64ElEEvPKfPKbPfiPT4_Piiii,comdat
	.protected	_ZN4vllm3moe17topkGatingSoftmaxILi4ELi4ELi4ELi16ELi64ElEEvPKfPKbPfiPT4_Piiii ; -- Begin function _ZN4vllm3moe17topkGatingSoftmaxILi4ELi4ELi4ELi16ELi64ElEEvPKfPKbPfiPT4_Piiii
	.globl	_ZN4vllm3moe17topkGatingSoftmaxILi4ELi4ELi4ELi16ELi64ElEEvPKfPKbPfiPT4_Piiii
	.p2align	8
	.type	_ZN4vllm3moe17topkGatingSoftmaxILi4ELi4ELi4ELi16ELi64ElEEvPKfPKbPfiPT4_Piiii,@function
_ZN4vllm3moe17topkGatingSoftmaxILi4ELi4ELi4ELi16ELi64ElEEvPKfPKbPfiPT4_Piiii: ; @_ZN4vllm3moe17topkGatingSoftmaxILi4ELi4ELi4ELi16ELi64ElEEvPKfPKbPfiPT4_Piiii
; %bb.0:
	s_load_dword s14, s[6:7], 0x18
	v_bfe_u32 v2, v0, 10, 10
	v_and_b32_e32 v1, 0x3ff, v0
	s_lshl_b32 s0, s8, 8
	v_lshlrev_b32_e32 v3, 6, v2
	v_add3_u32 v6, v3, v1, s0
	s_waitcnt lgkmcnt(0)
	v_cmp_gt_i32_e32 vcc, s14, v6
	s_and_saveexec_b64 s[0:1], vcc
	s_cbranch_execz .LBB49_9
; %bb.1:
	s_load_dwordx4 s[0:3], s[6:7], 0x0
	s_load_dwordx2 s[12:13], s[6:7], 0x10
	s_waitcnt lgkmcnt(0)
	s_cmp_eq_u64 s[2:3], 0
	s_cbranch_scc1 .LBB49_3
; %bb.2:
	v_ashrrev_i32_e32 v3, 31, v6
	v_mov_b32_e32 v5, s3
	v_add_co_u32_e32 v4, vcc, s2, v6
	v_addc_co_u32_e32 v5, vcc, v5, v3, vcc
	global_load_ubyte v3, v[4:5], off
	s_waitcnt vmcnt(0)
	v_and_b32_e32 v3, 1, v3
	v_cmp_eq_u32_e32 vcc, 1, v3
	s_xor_b64 s[2:3], vcc, -1
	s_orn2_b64 s[2:3], s[2:3], exec
	s_branch .LBB49_4
.LBB49_3:
	s_mov_b64 s[2:3], -1
.LBB49_4:
	v_lshlrev_b32_e32 v4, 2, v6
	v_ashrrev_i32_e32 v5, 31, v4
	v_lshlrev_b64 v[4:5], 2, v[4:5]
	v_mov_b32_e32 v3, s1
	v_add_co_u32_e32 v4, vcc, s0, v4
	v_addc_co_u32_e32 v5, vcc, v3, v5, vcc
	global_load_dwordx4 v[8:11], v[4:5], off
	s_load_dwordx4 s[8:11], s[6:7], 0x30
	s_load_dwordx2 s[0:1], s[4:5], 0x4
	v_bfe_u32 v7, v0, 20, 10
	s_mov_b32 s5, 0x3fb8aa3b
	s_waitcnt lgkmcnt(0)
	s_mov_b32 s11, 0xc2ce8ed0
	s_mov_b32 s15, 0x42b17218
	s_lshr_b32 s0, s0, 16
	s_mul_i32 s0, s0, s1
	v_mul_lo_u32 v0, s0, v1
	v_mad_u32_u24 v12, v2, s1, v0
	v_mov_b32_e32 v4, 0x7f800000
	s_mov_b32 s4, 0
	v_add_lshl_u32 v7, v12, v7, 4
	s_cmp_lt_i32 s8, 1
	s_waitcnt vmcnt(0)
	v_max_f32_e32 v0, v9, v9
	v_max_f32_e32 v1, v8, v8
	;; [unrolled: 1-line block ×3, first 2 shown]
	v_max3_f32 v0, v0, v10, v11
	v_pk_add_f32 v[2:3], v[8:9], v[0:1] op_sel_hi:[1,0] neg_lo:[0,1] neg_hi:[0,1]
	v_mul_f32_e32 v5, 0x3fb8aa3b, v3
	v_pk_add_f32 v[0:1], v[10:11], v[0:1] op_sel_hi:[1,0] neg_lo:[0,1] neg_hi:[0,1]
	v_mul_f32_e32 v8, 0x3fb8aa3b, v2
	v_fma_f32 v11, v3, s5, -v5
	v_rndne_f32_e32 v13, v5
	v_mul_f32_e32 v9, 0x3fb8aa3b, v1
	v_fma_f32 v14, v2, s5, -v8
	v_rndne_f32_e32 v15, v8
	v_fmac_f32_e32 v11, 0x32a5705f, v3
	v_sub_f32_e32 v5, v5, v13
	v_mul_f32_e32 v10, 0x3fb8aa3b, v0
	v_fma_f32 v16, v1, s5, -v9
	v_rndne_f32_e32 v17, v9
	v_fmac_f32_e32 v14, 0x32a5705f, v2
	v_sub_f32_e32 v8, v8, v15
	v_add_f32_e32 v5, v5, v11
	v_fma_f32 v18, v0, s5, -v10
	v_rndne_f32_e32 v19, v10
	v_cvt_i32_f32_e32 v13, v13
	v_fmac_f32_e32 v16, 0x32a5705f, v1
	v_sub_f32_e32 v9, v9, v17
	v_add_f32_e32 v8, v8, v14
	v_exp_f32_e32 v5, v5
	v_cvt_i32_f32_e32 v15, v15
	v_fmac_f32_e32 v18, 0x32a5705f, v0
	v_sub_f32_e32 v10, v10, v19
	v_add_f32_e32 v9, v9, v16
	v_exp_f32_e32 v8, v8
	v_cvt_i32_f32_e32 v17, v17
	v_add_f32_e32 v10, v10, v18
	v_exp_f32_e32 v9, v9
	v_cvt_i32_f32_e32 v19, v19
	v_exp_f32_e32 v10, v10
	v_ldexp_f32 v5, v5, v13
	v_cmp_ngt_f32_e32 vcc, s11, v3
	v_ldexp_f32 v8, v8, v15
	v_cndmask_b32_e32 v5, 0, v5, vcc
	v_cmp_ngt_f32_e32 vcc, s11, v2
	v_ldexp_f32 v9, v9, v17
	v_cndmask_b32_e32 v8, 0, v8, vcc
	;; [unrolled: 3-line block ×3, first 2 shown]
	v_cmp_ngt_f32_e32 vcc, s11, v0
	v_cndmask_b32_e32 v10, 0, v10, vcc
	v_cmp_nlt_f32_e32 vcc, s15, v3
	v_cndmask_b32_e32 v3, v4, v5, vcc
	v_cmp_nlt_f32_e32 vcc, s15, v2
	;; [unrolled: 2-line block ×4, first 2 shown]
	v_cndmask_b32_e32 v4, v4, v10, vcc
	v_add_f32_e32 v0, v2, v3
	v_add_f32_e32 v0, v0, v4
	;; [unrolled: 1-line block ×3, first 2 shown]
	v_div_scale_f32 v1, s[0:1], v0, v0, 1.0
	v_rcp_f32_e32 v8, v1
	v_div_scale_f32 v9, vcc, 1.0, v0, 1.0
	v_fma_f32 v10, -v1, v8, 1.0
	v_fmac_f32_e32 v8, v10, v8
	v_mul_f32_e32 v10, v9, v8
	v_fma_f32 v11, -v1, v10, v9
	v_fmac_f32_e32 v10, v11, v8
	v_fma_f32 v1, -v1, v10, v9
	v_div_fmas_f32 v1, v1, v8, v10
	v_div_fixup_f32 v8, v1, v0, 1.0
	v_pk_mul_f32 v[0:1], v[8:9], v[2:3] op_sel_hi:[0,1]
	v_pk_mul_f32 v[2:3], v[8:9], v[4:5] op_sel_hi:[0,1]
	ds_write_b128 v7, v[0:3]
	s_cbranch_scc1 .LBB49_9
; %bb.5:
	s_load_dwordx4 s[16:19], s[6:7], 0x20
	v_mul_lo_u32 v2, v6, s8
	v_ashrrev_i32_e32 v3, 31, v2
	v_lshlrev_b64 v[4:5], 2, v[2:3]
	v_mov_b32_e32 v1, s13
	v_add_co_u32_e32 v0, vcc, s12, v4
	v_addc_co_u32_e32 v1, vcc, v1, v5, vcc
	v_lshlrev_b64 v[2:3], 3, v[2:3]
	s_waitcnt lgkmcnt(0)
	v_mov_b32_e32 v8, s17
	v_add_co_u32_e32 v2, vcc, s16, v2
	v_addc_co_u32_e32 v3, vcc, v8, v3, vcc
	v_mov_b32_e32 v8, s19
	v_add_co_u32_e32 v4, vcc, s18, v4
	v_addc_co_u32_e32 v5, vcc, v8, v5, vcc
	v_mov_b32_e32 v8, 0xc61c4000
	s_branch .LBB49_7
.LBB49_6:                               ;   in Loop: Header=BB49_7 Depth=1
	v_add_co_u32_e32 v0, vcc, 4, v0
	v_addc_co_u32_e32 v1, vcc, 0, v1, vcc
	v_add_co_u32_e32 v2, vcc, 8, v2
	v_addc_co_u32_e32 v3, vcc, 0, v3, vcc
	v_add_co_u32_e32 v4, vcc, 4, v4
	v_add_u32_e32 v6, s14, v6
	s_cmp_lg_u32 s8, s4
	v_addc_co_u32_e32 v5, vcc, 0, v5, vcc
	s_cbranch_scc0 .LBB49_9
.LBB49_7:                               ; =>This Inner Loop Header: Depth=1
	ds_read_b128 v[10:13], v7
	s_add_i32 s4, s4, 1
	global_store_dword v[4:5], v6, off
	s_waitcnt lgkmcnt(0)
	v_cmp_gt_f32_e32 vcc, v11, v10
	v_cndmask_b32_e32 v9, v10, v11, vcc
	v_cndmask_b32_e64 v10, 0, 1, vcc
	v_cmp_gt_f32_e32 vcc, v12, v9
	v_cndmask_b32_e32 v9, v9, v12, vcc
	v_cndmask_b32_e64 v10, v10, 2, vcc
	;; [unrolled: 3-line block ×3, first 2 shown]
	v_cmp_le_i32_e32 vcc, s9, v9
	v_cmp_gt_i32_e64 s[0:1], s10, v9
	s_and_b64 s[0:1], vcc, s[0:1]
	v_subrev_u32_e32 v10, s9, v9
	global_store_dword v[0:1], v11, off
	v_ashrrev_i32_e32 v11, 31, v10
	s_and_b64 vcc, s[2:3], s[0:1]
	v_cndmask_b32_e32 v11, 0, v11, vcc
	v_cndmask_b32_e32 v10, 4, v10, vcc
	s_cmp_ge_i32 s4, s8
	global_store_dwordx2 v[2:3], v[10:11], off
	s_cbranch_scc1 .LBB49_6
; %bb.8:                                ;   in Loop: Header=BB49_7 Depth=1
	v_lshl_add_u32 v9, v9, 2, v7
	ds_write_b32 v9, v8
	s_branch .LBB49_6
.LBB49_9:
	s_endpgm
	.section	.rodata,"a",@progbits
	.p2align	6, 0x0
	.amdhsa_kernel _ZN4vllm3moe17topkGatingSoftmaxILi4ELi4ELi4ELi16ELi64ElEEvPKfPKbPfiPT4_Piiii
		.amdhsa_group_segment_fixed_size 4096
		.amdhsa_private_segment_fixed_size 0
		.amdhsa_kernarg_size 60
		.amdhsa_user_sgpr_count 8
		.amdhsa_user_sgpr_private_segment_buffer 1
		.amdhsa_user_sgpr_dispatch_ptr 1
		.amdhsa_user_sgpr_queue_ptr 0
		.amdhsa_user_sgpr_kernarg_segment_ptr 1
		.amdhsa_user_sgpr_dispatch_id 0
		.amdhsa_user_sgpr_flat_scratch_init 0
		.amdhsa_user_sgpr_kernarg_preload_length 0
		.amdhsa_user_sgpr_kernarg_preload_offset 0
		.amdhsa_user_sgpr_private_segment_size 0
		.amdhsa_uses_dynamic_stack 0
		.amdhsa_system_sgpr_private_segment_wavefront_offset 0
		.amdhsa_system_sgpr_workgroup_id_x 1
		.amdhsa_system_sgpr_workgroup_id_y 0
		.amdhsa_system_sgpr_workgroup_id_z 0
		.amdhsa_system_sgpr_workgroup_info 0
		.amdhsa_system_vgpr_workitem_id 2
		.amdhsa_next_free_vgpr 20
		.amdhsa_next_free_sgpr 20
		.amdhsa_accum_offset 20
		.amdhsa_reserve_vcc 1
		.amdhsa_reserve_flat_scratch 0
		.amdhsa_float_round_mode_32 0
		.amdhsa_float_round_mode_16_64 0
		.amdhsa_float_denorm_mode_32 3
		.amdhsa_float_denorm_mode_16_64 3
		.amdhsa_dx10_clamp 1
		.amdhsa_ieee_mode 1
		.amdhsa_fp16_overflow 0
		.amdhsa_tg_split 0
		.amdhsa_exception_fp_ieee_invalid_op 0
		.amdhsa_exception_fp_denorm_src 0
		.amdhsa_exception_fp_ieee_div_zero 0
		.amdhsa_exception_fp_ieee_overflow 0
		.amdhsa_exception_fp_ieee_underflow 0
		.amdhsa_exception_fp_ieee_inexact 0
		.amdhsa_exception_int_div_zero 0
	.end_amdhsa_kernel
	.section	.text._ZN4vllm3moe17topkGatingSoftmaxILi4ELi4ELi4ELi16ELi64ElEEvPKfPKbPfiPT4_Piiii,"axG",@progbits,_ZN4vllm3moe17topkGatingSoftmaxILi4ELi4ELi4ELi16ELi64ElEEvPKfPKbPfiPT4_Piiii,comdat
.Lfunc_end49:
	.size	_ZN4vllm3moe17topkGatingSoftmaxILi4ELi4ELi4ELi16ELi64ElEEvPKfPKbPfiPT4_Piiii, .Lfunc_end49-_ZN4vllm3moe17topkGatingSoftmaxILi4ELi4ELi4ELi16ELi64ElEEvPKfPKbPfiPT4_Piiii
                                        ; -- End function
	.section	.AMDGPU.csdata,"",@progbits
; Kernel info:
; codeLenInByte = 976
; NumSgprs: 24
; NumVgprs: 20
; NumAgprs: 0
; TotalNumVgprs: 20
; ScratchSize: 0
; MemoryBound: 0
; FloatMode: 240
; IeeeMode: 1
; LDSByteSize: 4096 bytes/workgroup (compile time only)
; SGPRBlocks: 2
; VGPRBlocks: 2
; NumSGPRsForWavesPerEU: 24
; NumVGPRsForWavesPerEU: 20
; AccumOffset: 20
; Occupancy: 8
; WaveLimiterHint : 0
; COMPUTE_PGM_RSRC2:SCRATCH_EN: 0
; COMPUTE_PGM_RSRC2:USER_SGPR: 8
; COMPUTE_PGM_RSRC2:TRAP_HANDLER: 0
; COMPUTE_PGM_RSRC2:TGID_X_EN: 1
; COMPUTE_PGM_RSRC2:TGID_Y_EN: 0
; COMPUTE_PGM_RSRC2:TGID_Z_EN: 0
; COMPUTE_PGM_RSRC2:TIDIG_COMP_CNT: 2
; COMPUTE_PGM_RSRC3_GFX90A:ACCUM_OFFSET: 4
; COMPUTE_PGM_RSRC3_GFX90A:TG_SPLIT: 0
	.section	.text._ZN4vllm3moe17topkGatingSoftmaxILi4ELi4ELi4ELi16ELi32ElEEvPKfPKbPfiPT4_Piiii,"axG",@progbits,_ZN4vllm3moe17topkGatingSoftmaxILi4ELi4ELi4ELi16ELi32ElEEvPKfPKbPfiPT4_Piiii,comdat
	.protected	_ZN4vllm3moe17topkGatingSoftmaxILi4ELi4ELi4ELi16ELi32ElEEvPKfPKbPfiPT4_Piiii ; -- Begin function _ZN4vllm3moe17topkGatingSoftmaxILi4ELi4ELi4ELi16ELi32ElEEvPKfPKbPfiPT4_Piiii
	.globl	_ZN4vllm3moe17topkGatingSoftmaxILi4ELi4ELi4ELi16ELi32ElEEvPKfPKbPfiPT4_Piiii
	.p2align	8
	.type	_ZN4vllm3moe17topkGatingSoftmaxILi4ELi4ELi4ELi16ELi32ElEEvPKfPKbPfiPT4_Piiii,@function
_ZN4vllm3moe17topkGatingSoftmaxILi4ELi4ELi4ELi16ELi32ElEEvPKfPKbPfiPT4_Piiii: ; @_ZN4vllm3moe17topkGatingSoftmaxILi4ELi4ELi4ELi16ELi32ElEEvPKfPKbPfiPT4_Piiii
; %bb.0:
	s_load_dword s14, s[6:7], 0x18
	v_bfe_u32 v2, v0, 10, 10
	v_and_b32_e32 v1, 0x3ff, v0
	s_lshl_b32 s0, s8, 7
	v_lshlrev_b32_e32 v3, 5, v2
	v_add3_u32 v6, v3, v1, s0
	s_waitcnt lgkmcnt(0)
	v_cmp_gt_i32_e32 vcc, s14, v6
	s_and_saveexec_b64 s[0:1], vcc
	s_cbranch_execz .LBB50_9
; %bb.1:
	s_load_dwordx4 s[0:3], s[6:7], 0x0
	s_load_dwordx2 s[12:13], s[6:7], 0x10
	s_waitcnt lgkmcnt(0)
	s_cmp_eq_u64 s[2:3], 0
	s_cbranch_scc1 .LBB50_3
; %bb.2:
	v_ashrrev_i32_e32 v3, 31, v6
	v_mov_b32_e32 v5, s3
	v_add_co_u32_e32 v4, vcc, s2, v6
	v_addc_co_u32_e32 v5, vcc, v5, v3, vcc
	global_load_ubyte v3, v[4:5], off
	s_waitcnt vmcnt(0)
	v_and_b32_e32 v3, 1, v3
	v_cmp_eq_u32_e32 vcc, 1, v3
	s_xor_b64 s[2:3], vcc, -1
	s_orn2_b64 s[2:3], s[2:3], exec
	s_branch .LBB50_4
.LBB50_3:
	s_mov_b64 s[2:3], -1
.LBB50_4:
	v_lshlrev_b32_e32 v4, 2, v6
	v_ashrrev_i32_e32 v5, 31, v4
	v_lshlrev_b64 v[4:5], 2, v[4:5]
	v_mov_b32_e32 v3, s1
	v_add_co_u32_e32 v4, vcc, s0, v4
	v_addc_co_u32_e32 v5, vcc, v3, v5, vcc
	global_load_dwordx4 v[8:11], v[4:5], off
	s_load_dwordx4 s[8:11], s[6:7], 0x30
	s_load_dwordx2 s[0:1], s[4:5], 0x4
	v_bfe_u32 v7, v0, 20, 10
	s_mov_b32 s5, 0x3fb8aa3b
	s_waitcnt lgkmcnt(0)
	s_mov_b32 s11, 0xc2ce8ed0
	s_mov_b32 s15, 0x42b17218
	s_lshr_b32 s0, s0, 16
	v_mul_u32_u24_e32 v0, s1, v2
	s_mul_i32 s0, s0, s1
	v_mad_u32_u24 v12, s0, v1, v0
	v_mov_b32_e32 v4, 0x7f800000
	s_mov_b32 s4, 0
	v_add_lshl_u32 v7, v12, v7, 4
	s_cmp_lt_i32 s8, 1
	s_waitcnt vmcnt(0)
	v_max_f32_e32 v0, v9, v9
	v_max_f32_e32 v1, v8, v8
	;; [unrolled: 1-line block ×3, first 2 shown]
	v_max3_f32 v0, v0, v10, v11
	v_pk_add_f32 v[2:3], v[8:9], v[0:1] op_sel_hi:[1,0] neg_lo:[0,1] neg_hi:[0,1]
	v_mul_f32_e32 v5, 0x3fb8aa3b, v3
	v_pk_add_f32 v[0:1], v[10:11], v[0:1] op_sel_hi:[1,0] neg_lo:[0,1] neg_hi:[0,1]
	v_mul_f32_e32 v8, 0x3fb8aa3b, v2
	v_fma_f32 v11, v3, s5, -v5
	v_rndne_f32_e32 v13, v5
	v_mul_f32_e32 v9, 0x3fb8aa3b, v1
	v_fma_f32 v14, v2, s5, -v8
	v_rndne_f32_e32 v15, v8
	v_fmac_f32_e32 v11, 0x32a5705f, v3
	v_sub_f32_e32 v5, v5, v13
	v_mul_f32_e32 v10, 0x3fb8aa3b, v0
	v_fma_f32 v16, v1, s5, -v9
	v_rndne_f32_e32 v17, v9
	v_fmac_f32_e32 v14, 0x32a5705f, v2
	v_sub_f32_e32 v8, v8, v15
	v_add_f32_e32 v5, v5, v11
	v_fma_f32 v18, v0, s5, -v10
	v_rndne_f32_e32 v19, v10
	v_cvt_i32_f32_e32 v13, v13
	v_fmac_f32_e32 v16, 0x32a5705f, v1
	v_sub_f32_e32 v9, v9, v17
	v_add_f32_e32 v8, v8, v14
	v_exp_f32_e32 v5, v5
	v_cvt_i32_f32_e32 v15, v15
	v_fmac_f32_e32 v18, 0x32a5705f, v0
	v_sub_f32_e32 v10, v10, v19
	v_add_f32_e32 v9, v9, v16
	v_exp_f32_e32 v8, v8
	v_cvt_i32_f32_e32 v17, v17
	v_add_f32_e32 v10, v10, v18
	v_exp_f32_e32 v9, v9
	v_cvt_i32_f32_e32 v19, v19
	v_exp_f32_e32 v10, v10
	v_ldexp_f32 v5, v5, v13
	v_cmp_ngt_f32_e32 vcc, s11, v3
	v_ldexp_f32 v8, v8, v15
	v_cndmask_b32_e32 v5, 0, v5, vcc
	v_cmp_ngt_f32_e32 vcc, s11, v2
	v_ldexp_f32 v9, v9, v17
	v_cndmask_b32_e32 v8, 0, v8, vcc
	;; [unrolled: 3-line block ×3, first 2 shown]
	v_cmp_ngt_f32_e32 vcc, s11, v0
	v_cndmask_b32_e32 v10, 0, v10, vcc
	v_cmp_nlt_f32_e32 vcc, s15, v3
	v_cndmask_b32_e32 v3, v4, v5, vcc
	v_cmp_nlt_f32_e32 vcc, s15, v2
	;; [unrolled: 2-line block ×4, first 2 shown]
	v_cndmask_b32_e32 v4, v4, v10, vcc
	v_add_f32_e32 v0, v2, v3
	v_add_f32_e32 v0, v0, v4
	v_add_f32_e32 v0, v0, v5
	v_div_scale_f32 v1, s[0:1], v0, v0, 1.0
	v_rcp_f32_e32 v8, v1
	v_div_scale_f32 v9, vcc, 1.0, v0, 1.0
	v_fma_f32 v10, -v1, v8, 1.0
	v_fmac_f32_e32 v8, v10, v8
	v_mul_f32_e32 v10, v9, v8
	v_fma_f32 v11, -v1, v10, v9
	v_fmac_f32_e32 v10, v11, v8
	v_fma_f32 v1, -v1, v10, v9
	v_div_fmas_f32 v1, v1, v8, v10
	v_div_fixup_f32 v8, v1, v0, 1.0
	v_pk_mul_f32 v[0:1], v[8:9], v[2:3] op_sel_hi:[0,1]
	v_pk_mul_f32 v[2:3], v[8:9], v[4:5] op_sel_hi:[0,1]
	ds_write_b128 v7, v[0:3]
	s_cbranch_scc1 .LBB50_9
; %bb.5:
	s_load_dwordx4 s[16:19], s[6:7], 0x20
	v_mul_lo_u32 v2, v6, s8
	v_ashrrev_i32_e32 v3, 31, v2
	v_lshlrev_b64 v[4:5], 2, v[2:3]
	v_mov_b32_e32 v1, s13
	v_add_co_u32_e32 v0, vcc, s12, v4
	v_addc_co_u32_e32 v1, vcc, v1, v5, vcc
	v_lshlrev_b64 v[2:3], 3, v[2:3]
	s_waitcnt lgkmcnt(0)
	v_mov_b32_e32 v8, s17
	v_add_co_u32_e32 v2, vcc, s16, v2
	v_addc_co_u32_e32 v3, vcc, v8, v3, vcc
	v_mov_b32_e32 v8, s19
	v_add_co_u32_e32 v4, vcc, s18, v4
	v_addc_co_u32_e32 v5, vcc, v8, v5, vcc
	v_mov_b32_e32 v8, 0xc61c4000
	s_branch .LBB50_7
.LBB50_6:                               ;   in Loop: Header=BB50_7 Depth=1
	v_add_co_u32_e32 v0, vcc, 4, v0
	v_addc_co_u32_e32 v1, vcc, 0, v1, vcc
	v_add_co_u32_e32 v2, vcc, 8, v2
	v_addc_co_u32_e32 v3, vcc, 0, v3, vcc
	v_add_co_u32_e32 v4, vcc, 4, v4
	v_add_u32_e32 v6, s14, v6
	s_cmp_lg_u32 s8, s4
	v_addc_co_u32_e32 v5, vcc, 0, v5, vcc
	s_cbranch_scc0 .LBB50_9
.LBB50_7:                               ; =>This Inner Loop Header: Depth=1
	ds_read_b128 v[10:13], v7
	s_add_i32 s4, s4, 1
	global_store_dword v[4:5], v6, off
	s_waitcnt lgkmcnt(0)
	v_cmp_gt_f32_e32 vcc, v11, v10
	v_cndmask_b32_e32 v9, v10, v11, vcc
	v_cndmask_b32_e64 v10, 0, 1, vcc
	v_cmp_gt_f32_e32 vcc, v12, v9
	v_cndmask_b32_e32 v9, v9, v12, vcc
	v_cndmask_b32_e64 v10, v10, 2, vcc
	;; [unrolled: 3-line block ×3, first 2 shown]
	v_cmp_le_i32_e32 vcc, s9, v9
	v_cmp_gt_i32_e64 s[0:1], s10, v9
	s_and_b64 s[0:1], vcc, s[0:1]
	v_subrev_u32_e32 v10, s9, v9
	global_store_dword v[0:1], v11, off
	v_ashrrev_i32_e32 v11, 31, v10
	s_and_b64 vcc, s[2:3], s[0:1]
	v_cndmask_b32_e32 v11, 0, v11, vcc
	v_cndmask_b32_e32 v10, 4, v10, vcc
	s_cmp_ge_i32 s4, s8
	global_store_dwordx2 v[2:3], v[10:11], off
	s_cbranch_scc1 .LBB50_6
; %bb.8:                                ;   in Loop: Header=BB50_7 Depth=1
	v_lshl_add_u32 v9, v9, 2, v7
	ds_write_b32 v9, v8
	s_branch .LBB50_6
.LBB50_9:
	s_endpgm
	.section	.rodata,"a",@progbits
	.p2align	6, 0x0
	.amdhsa_kernel _ZN4vllm3moe17topkGatingSoftmaxILi4ELi4ELi4ELi16ELi32ElEEvPKfPKbPfiPT4_Piiii
		.amdhsa_group_segment_fixed_size 2048
		.amdhsa_private_segment_fixed_size 0
		.amdhsa_kernarg_size 60
		.amdhsa_user_sgpr_count 8
		.amdhsa_user_sgpr_private_segment_buffer 1
		.amdhsa_user_sgpr_dispatch_ptr 1
		.amdhsa_user_sgpr_queue_ptr 0
		.amdhsa_user_sgpr_kernarg_segment_ptr 1
		.amdhsa_user_sgpr_dispatch_id 0
		.amdhsa_user_sgpr_flat_scratch_init 0
		.amdhsa_user_sgpr_kernarg_preload_length 0
		.amdhsa_user_sgpr_kernarg_preload_offset 0
		.amdhsa_user_sgpr_private_segment_size 0
		.amdhsa_uses_dynamic_stack 0
		.amdhsa_system_sgpr_private_segment_wavefront_offset 0
		.amdhsa_system_sgpr_workgroup_id_x 1
		.amdhsa_system_sgpr_workgroup_id_y 0
		.amdhsa_system_sgpr_workgroup_id_z 0
		.amdhsa_system_sgpr_workgroup_info 0
		.amdhsa_system_vgpr_workitem_id 2
		.amdhsa_next_free_vgpr 20
		.amdhsa_next_free_sgpr 20
		.amdhsa_accum_offset 20
		.amdhsa_reserve_vcc 1
		.amdhsa_reserve_flat_scratch 0
		.amdhsa_float_round_mode_32 0
		.amdhsa_float_round_mode_16_64 0
		.amdhsa_float_denorm_mode_32 3
		.amdhsa_float_denorm_mode_16_64 3
		.amdhsa_dx10_clamp 1
		.amdhsa_ieee_mode 1
		.amdhsa_fp16_overflow 0
		.amdhsa_tg_split 0
		.amdhsa_exception_fp_ieee_invalid_op 0
		.amdhsa_exception_fp_denorm_src 0
		.amdhsa_exception_fp_ieee_div_zero 0
		.amdhsa_exception_fp_ieee_overflow 0
		.amdhsa_exception_fp_ieee_underflow 0
		.amdhsa_exception_fp_ieee_inexact 0
		.amdhsa_exception_int_div_zero 0
	.end_amdhsa_kernel
	.section	.text._ZN4vllm3moe17topkGatingSoftmaxILi4ELi4ELi4ELi16ELi32ElEEvPKfPKbPfiPT4_Piiii,"axG",@progbits,_ZN4vllm3moe17topkGatingSoftmaxILi4ELi4ELi4ELi16ELi32ElEEvPKfPKbPfiPT4_Piiii,comdat
.Lfunc_end50:
	.size	_ZN4vllm3moe17topkGatingSoftmaxILi4ELi4ELi4ELi16ELi32ElEEvPKfPKbPfiPT4_Piiii, .Lfunc_end50-_ZN4vllm3moe17topkGatingSoftmaxILi4ELi4ELi4ELi16ELi32ElEEvPKfPKbPfiPT4_Piiii
                                        ; -- End function
	.section	.AMDGPU.csdata,"",@progbits
; Kernel info:
; codeLenInByte = 972
; NumSgprs: 24
; NumVgprs: 20
; NumAgprs: 0
; TotalNumVgprs: 20
; ScratchSize: 0
; MemoryBound: 0
; FloatMode: 240
; IeeeMode: 1
; LDSByteSize: 2048 bytes/workgroup (compile time only)
; SGPRBlocks: 2
; VGPRBlocks: 2
; NumSGPRsForWavesPerEU: 24
; NumVGPRsForWavesPerEU: 20
; AccumOffset: 20
; Occupancy: 8
; WaveLimiterHint : 0
; COMPUTE_PGM_RSRC2:SCRATCH_EN: 0
; COMPUTE_PGM_RSRC2:USER_SGPR: 8
; COMPUTE_PGM_RSRC2:TRAP_HANDLER: 0
; COMPUTE_PGM_RSRC2:TGID_X_EN: 1
; COMPUTE_PGM_RSRC2:TGID_Y_EN: 0
; COMPUTE_PGM_RSRC2:TGID_Z_EN: 0
; COMPUTE_PGM_RSRC2:TIDIG_COMP_CNT: 2
; COMPUTE_PGM_RSRC3_GFX90A:ACCUM_OFFSET: 4
; COMPUTE_PGM_RSRC3_GFX90A:TG_SPLIT: 0
	.section	.text._ZN4vllm3moe17topkGatingSoftmaxILi4ELi8ELi4ELi16ELi64ElEEvPKfPKbPfiPT4_Piiii,"axG",@progbits,_ZN4vllm3moe17topkGatingSoftmaxILi4ELi8ELi4ELi16ELi64ElEEvPKfPKbPfiPT4_Piiii,comdat
	.protected	_ZN4vllm3moe17topkGatingSoftmaxILi4ELi8ELi4ELi16ELi64ElEEvPKfPKbPfiPT4_Piiii ; -- Begin function _ZN4vllm3moe17topkGatingSoftmaxILi4ELi8ELi4ELi16ELi64ElEEvPKfPKbPfiPT4_Piiii
	.globl	_ZN4vllm3moe17topkGatingSoftmaxILi4ELi8ELi4ELi16ELi64ElEEvPKfPKbPfiPT4_Piiii
	.p2align	8
	.type	_ZN4vllm3moe17topkGatingSoftmaxILi4ELi8ELi4ELi16ELi64ElEEvPKfPKbPfiPT4_Piiii,@function
_ZN4vllm3moe17topkGatingSoftmaxILi4ELi8ELi4ELi16ELi64ElEEvPKfPKbPfiPT4_Piiii: ; @_ZN4vllm3moe17topkGatingSoftmaxILi4ELi8ELi4ELi16ELi64ElEEvPKfPKbPfiPT4_Piiii
; %bb.0:
	s_load_dword s20, s[6:7], 0x18
	v_and_b32_e32 v3, 0x3ff, v0
	v_bfe_u32 v4, v0, 10, 10
	s_lshl_b32 s0, s8, 7
	v_lshlrev_b32_e32 v1, 5, v4
	v_lshrrev_b32_e32 v2, 1, v3
	v_add3_u32 v1, s0, v1, v2
	s_waitcnt lgkmcnt(0)
	v_cmp_gt_i32_e32 vcc, s20, v1
	s_and_saveexec_b64 s[0:1], vcc
	s_cbranch_execz .LBB51_15
; %bb.1:
	s_load_dwordx4 s[0:3], s[6:7], 0x0
	s_load_dwordx2 s[12:13], s[6:7], 0x10
	s_waitcnt lgkmcnt(0)
	s_cmp_eq_u64 s[2:3], 0
	s_cbranch_scc1 .LBB51_3
; %bb.2:
	v_ashrrev_i32_e32 v2, 31, v1
	v_mov_b32_e32 v5, s3
	v_add_co_u32_e32 v6, vcc, s2, v1
	v_addc_co_u32_e32 v7, vcc, v5, v2, vcc
	global_load_ubyte v2, v[6:7], off
	s_waitcnt vmcnt(0)
	v_and_b32_e32 v2, 1, v2
	v_cmp_eq_u32_e32 vcc, 1, v2
	s_xor_b64 s[2:3], vcc, -1
	s_orn2_b64 s[14:15], s[2:3], exec
	s_branch .LBB51_4
.LBB51_3:
	s_mov_b64 s[14:15], -1
.LBB51_4:
	v_lshlrev_b32_e32 v6, 3, v1
	v_ashrrev_i32_e32 v7, 31, v6
	v_lshlrev_b64 v[6:7], 2, v[6:7]
	v_mov_b32_e32 v2, s1
	v_add_co_u32_e32 v5, vcc, s0, v6
	v_addc_co_u32_e32 v7, vcc, v2, v7, vcc
	v_and_b32_e32 v2, 1, v3
	v_lshlrev_b32_e32 v6, 4, v2
	v_add_co_u32_e32 v6, vcc, v5, v6
	v_addc_co_u32_e32 v7, vcc, 0, v7, vcc
	global_load_dwordx4 v[6:9], v[6:7], off
	v_bfe_u32 v5, v0, 20, 10
	v_mbcnt_lo_u32_b32 v0, -1, 0
	v_mbcnt_hi_u32_b32 v0, -1, v0
	v_and_b32_e32 v11, 0x7e, v0
	v_xor_b32_e32 v10, 1, v0
	v_add_u32_e32 v11, 2, v11
	v_cmp_lt_i32_e32 vcc, v10, v11
	v_cndmask_b32_e32 v0, v0, v10, vcc
	v_lshlrev_b32_e32 v0, 2, v0
	s_mov_b32 s2, 0x3fb8aa3b
	s_mov_b32 s3, 0xc2ce8ed0
	s_load_dwordx4 s[8:11], s[6:7], 0x30
	s_load_dwordx2 s[0:1], s[4:5], 0x4
	s_mov_b32 s4, 0x42b17218
	v_mov_b32_e32 v12, 0x7f800000
	s_waitcnt lgkmcnt(0)
	s_mov_b32 s11, 0
	s_lshr_b32 s0, s0, 16
	s_mul_i32 s0, s0, s1
	v_mul_lo_u32 v3, s0, v3
	v_mad_u32_u24 v3, v4, s1, v3
	v_add_lshl_u32 v3, v3, v5, 4
	s_cmp_lt_i32 s8, 1
	s_waitcnt vmcnt(0)
	v_max_f32_e32 v10, v7, v7
	v_max_f32_e32 v11, v6, v6
	;; [unrolled: 1-line block ×3, first 2 shown]
	v_max3_f32 v10, v10, v8, v9
	ds_bpermute_b32 v11, v0, v10
	s_waitcnt lgkmcnt(0)
	v_max_f32_e32 v11, v11, v11
	v_max_f32_e32 v10, v10, v11
	v_pk_add_f32 v[8:9], v[8:9], v[10:11] op_sel_hi:[1,0] neg_lo:[0,1] neg_hi:[0,1]
	v_pk_add_f32 v[6:7], v[6:7], v[10:11] op_sel_hi:[1,0] neg_lo:[0,1] neg_hi:[0,1]
	v_mul_f32_e32 v10, 0x3fb8aa3b, v9
	v_mul_f32_e32 v11, 0x3fb8aa3b, v8
	v_fma_f32 v15, v9, s2, -v10
	v_rndne_f32_e32 v16, v10
	v_mul_f32_e32 v13, 0x3fb8aa3b, v7
	v_fma_f32 v17, v8, s2, -v11
	v_rndne_f32_e32 v18, v11
	v_fmac_f32_e32 v15, 0x32a5705f, v9
	v_sub_f32_e32 v10, v10, v16
	v_mul_f32_e32 v14, 0x3fb8aa3b, v6
	v_fma_f32 v19, v7, s2, -v13
	v_rndne_f32_e32 v20, v13
	v_fmac_f32_e32 v17, 0x32a5705f, v8
	v_sub_f32_e32 v11, v11, v18
	v_add_f32_e32 v10, v10, v15
	v_fma_f32 v21, v6, s2, -v14
	v_rndne_f32_e32 v22, v14
	v_cvt_i32_f32_e32 v16, v16
	v_fmac_f32_e32 v19, 0x32a5705f, v7
	v_sub_f32_e32 v13, v13, v20
	v_add_f32_e32 v11, v11, v17
	v_exp_f32_e32 v10, v10
	v_cvt_i32_f32_e32 v18, v18
	v_fmac_f32_e32 v21, 0x32a5705f, v6
	v_sub_f32_e32 v14, v14, v22
	v_add_f32_e32 v13, v13, v19
	v_exp_f32_e32 v11, v11
	v_cvt_i32_f32_e32 v20, v20
	v_add_f32_e32 v14, v14, v21
	v_exp_f32_e32 v13, v13
	v_cvt_i32_f32_e32 v22, v22
	v_exp_f32_e32 v14, v14
	v_ldexp_f32 v10, v10, v16
	v_cmp_ngt_f32_e32 vcc, s3, v9
	v_ldexp_f32 v11, v11, v18
	v_cndmask_b32_e32 v10, 0, v10, vcc
	v_cmp_ngt_f32_e32 vcc, s3, v8
	v_ldexp_f32 v13, v13, v20
	v_cndmask_b32_e32 v11, 0, v11, vcc
	;; [unrolled: 3-line block ×3, first 2 shown]
	v_cmp_ngt_f32_e32 vcc, s3, v6
	v_cndmask_b32_e32 v14, 0, v14, vcc
	v_cmp_nlt_f32_e32 vcc, s4, v9
	v_cndmask_b32_e32 v9, v12, v10, vcc
	v_cmp_nlt_f32_e32 vcc, s4, v8
	;; [unrolled: 2-line block ×4, first 2 shown]
	v_cndmask_b32_e32 v6, v12, v14, vcc
	v_add_f32_e32 v10, v6, v7
	v_add_f32_e32 v10, v10, v8
	v_add_f32_e32 v10, v10, v9
	ds_bpermute_b32 v11, v0, v10
	s_waitcnt lgkmcnt(0)
	v_add_f32_e32 v4, v10, v11
	v_div_scale_f32 v10, s[0:1], v4, v4, 1.0
	v_rcp_f32_e32 v11, v10
	v_div_scale_f32 v5, vcc, 1.0, v4, 1.0
	v_fma_f32 v12, -v10, v11, 1.0
	v_fmac_f32_e32 v11, v12, v11
	v_mul_f32_e32 v12, v5, v11
	v_fma_f32 v13, -v10, v12, v5
	v_fmac_f32_e32 v12, v13, v11
	v_fma_f32 v5, -v10, v12, v5
	v_div_fmas_f32 v5, v5, v11, v12
	v_div_fixup_f32 v10, v5, v4, 1.0
	v_pk_mul_f32 v[4:5], v[10:11], v[6:7] op_sel_hi:[0,1]
	v_pk_mul_f32 v[6:7], v[10:11], v[8:9] op_sel_hi:[0,1]
	ds_write_b128 v3, v[4:7]
	s_cbranch_scc1 .LBB51_15
; %bb.5:
	s_load_dwordx4 s[4:7], s[6:7], 0x20
	v_lshlrev_b32_e32 v4, 2, v2
	v_cmp_eq_u32_e32 vcc, 0, v2
	v_mul_lo_u32 v5, v1, s8
	v_mov_b32_e32 v6, 0xc61c4000
	s_branch .LBB51_7
.LBB51_6:                               ;   in Loop: Header=BB51_7 Depth=1
	s_or_b64 exec, exec, s[0:1]
	s_cmp_lg_u32 s8, s11
	v_add_u32_e32 v1, s20, v1
	s_cbranch_scc0 .LBB51_15
.LBB51_7:                               ; =>This Inner Loop Header: Depth=1
	ds_read_b128 v[8:11], v3
	s_waitcnt lgkmcnt(0)
	v_cmp_gt_f32_e64 s[0:1], v9, v8
	v_cndmask_b32_e64 v7, v8, v9, s[0:1]
	v_cndmask_b32_e64 v8, 0, 1, s[0:1]
	v_cmp_gt_f32_e64 s[0:1], v10, v7
	v_cndmask_b32_e64 v7, v7, v10, s[0:1]
	v_cndmask_b32_e64 v9, v8, 2, s[0:1]
	;; [unrolled: 3-line block ×3, first 2 shown]
	ds_bpermute_b32 v9, v0, v8
	v_or_b32_e32 v7, v4, v7
	ds_bpermute_b32 v10, v0, v7
	s_waitcnt lgkmcnt(1)
	v_cmp_lt_f32_e64 s[16:17], v8, v9
	v_cmp_nlt_f32_e64 s[0:1], v8, v9
	s_and_saveexec_b64 s[18:19], s[0:1]
	s_cbranch_execnz .LBB51_13
; %bb.8:                                ;   in Loop: Header=BB51_7 Depth=1
	s_or_b64 exec, exec, s[18:19]
	s_and_saveexec_b64 s[0:1], s[16:17]
	s_cbranch_execnz .LBB51_14
.LBB51_9:                               ;   in Loop: Header=BB51_7 Depth=1
	s_or_b64 exec, exec, s[0:1]
	s_and_saveexec_b64 s[16:17], vcc
	s_cbranch_execz .LBB51_11
.LBB51_10:                              ;   in Loop: Header=BB51_7 Depth=1
	s_waitcnt lgkmcnt(0)
	v_add_u32_e32 v10, s11, v5
	v_ashrrev_i32_e32 v11, 31, v10
	v_cmp_le_i32_e64 s[0:1], s9, v7
	v_cmp_gt_i32_e64 s[2:3], s10, v7
	v_lshlrev_b64 v[12:13], 2, v[10:11]
	s_and_b64 s[2:3], s[0:1], s[2:3]
	v_mov_b32_e32 v9, s13
	v_add_co_u32_e64 v14, s[0:1], s12, v12
	v_addc_co_u32_e64 v15, s[0:1], v9, v13, s[0:1]
	global_store_dword v[14:15], v8, off
	v_subrev_u32_e32 v8, s9, v7
	v_ashrrev_i32_e32 v9, 31, v8
	s_and_b64 s[0:1], s[14:15], s[2:3]
	v_lshlrev_b64 v[10:11], 3, v[10:11]
	v_cndmask_b32_e64 v9, 0, v9, s[0:1]
	v_cndmask_b32_e64 v8, 8, v8, s[0:1]
	v_mov_b32_e32 v14, s5
	v_add_co_u32_e64 v10, s[0:1], s4, v10
	v_addc_co_u32_e64 v11, s[0:1], v14, v11, s[0:1]
	global_store_dwordx2 v[10:11], v[8:9], off
	v_mov_b32_e32 v9, s7
	v_add_co_u32_e64 v8, s[0:1], s6, v12
	v_addc_co_u32_e64 v9, s[0:1], v9, v13, s[0:1]
	global_store_dword v[8:9], v1, off
.LBB51_11:                              ;   in Loop: Header=BB51_7 Depth=1
	s_or_b64 exec, exec, s[16:17]
	v_ashrrev_i32_e32 v8, 31, v7
	v_lshrrev_b32_e32 v9, 30, v8
	s_waitcnt lgkmcnt(0)
	v_add_u32_e32 v10, v7, v9
	v_ashrrev_i32_e32 v9, 2, v10
	v_lshrrev_b32_e32 v10, 31, v10
	v_add_u32_e32 v10, v9, v10
	s_add_i32 s11, s11, 1
	v_and_b32_e32 v10, -2, v10
	s_cmp_lt_i32 s11, s8
	v_sub_u32_e32 v10, v9, v10
	s_cselect_b64 s[2:3], -1, 0
	v_cmp_eq_u32_e64 s[0:1], v2, v10
	s_and_b64 s[2:3], s[2:3], s[0:1]
	s_and_saveexec_b64 s[0:1], s[2:3]
	s_cbranch_execz .LBB51_6
; %bb.12:                               ;   in Loop: Header=BB51_7 Depth=1
	v_lshrrev_b32_e32 v8, 29, v8
	v_add_u32_e32 v8, v7, v8
	v_lshlrev_b32_e32 v9, 2, v9
	v_lshrrev_b32_e32 v8, 1, v8
	v_sub_u32_e32 v7, v7, v9
	v_and_b32_e32 v8, 0x7ffffffc, v8
	v_add_u32_e32 v7, v8, v7
	v_lshl_add_u32 v7, v7, 2, v3
	ds_write_b32 v7, v6
	s_branch .LBB51_6
.LBB51_13:                              ;   in Loop: Header=BB51_7 Depth=1
	v_cmp_eq_f32_e64 s[0:1], v8, v9
	s_waitcnt lgkmcnt(0)
	v_cmp_lt_i32_e64 s[2:3], v10, v7
	s_and_b64 s[0:1], s[0:1], s[2:3]
	s_andn2_b64 s[2:3], s[16:17], exec
	s_and_b64 s[0:1], s[0:1], exec
	s_or_b64 s[16:17], s[2:3], s[0:1]
	s_or_b64 exec, exec, s[18:19]
	s_and_saveexec_b64 s[0:1], s[16:17]
	s_cbranch_execz .LBB51_9
.LBB51_14:                              ;   in Loop: Header=BB51_7 Depth=1
	v_mov_b32_e32 v8, v9
	s_waitcnt lgkmcnt(0)
	v_mov_b32_e32 v7, v10
	s_or_b64 exec, exec, s[0:1]
	s_and_saveexec_b64 s[16:17], vcc
	s_cbranch_execnz .LBB51_10
	s_branch .LBB51_11
.LBB51_15:
	s_endpgm
	.section	.rodata,"a",@progbits
	.p2align	6, 0x0
	.amdhsa_kernel _ZN4vllm3moe17topkGatingSoftmaxILi4ELi8ELi4ELi16ELi64ElEEvPKfPKbPfiPT4_Piiii
		.amdhsa_group_segment_fixed_size 4096
		.amdhsa_private_segment_fixed_size 0
		.amdhsa_kernarg_size 60
		.amdhsa_user_sgpr_count 8
		.amdhsa_user_sgpr_private_segment_buffer 1
		.amdhsa_user_sgpr_dispatch_ptr 1
		.amdhsa_user_sgpr_queue_ptr 0
		.amdhsa_user_sgpr_kernarg_segment_ptr 1
		.amdhsa_user_sgpr_dispatch_id 0
		.amdhsa_user_sgpr_flat_scratch_init 0
		.amdhsa_user_sgpr_kernarg_preload_length 0
		.amdhsa_user_sgpr_kernarg_preload_offset 0
		.amdhsa_user_sgpr_private_segment_size 0
		.amdhsa_uses_dynamic_stack 0
		.amdhsa_system_sgpr_private_segment_wavefront_offset 0
		.amdhsa_system_sgpr_workgroup_id_x 1
		.amdhsa_system_sgpr_workgroup_id_y 0
		.amdhsa_system_sgpr_workgroup_id_z 0
		.amdhsa_system_sgpr_workgroup_info 0
		.amdhsa_system_vgpr_workitem_id 2
		.amdhsa_next_free_vgpr 23
		.amdhsa_next_free_sgpr 21
		.amdhsa_accum_offset 24
		.amdhsa_reserve_vcc 1
		.amdhsa_reserve_flat_scratch 0
		.amdhsa_float_round_mode_32 0
		.amdhsa_float_round_mode_16_64 0
		.amdhsa_float_denorm_mode_32 3
		.amdhsa_float_denorm_mode_16_64 3
		.amdhsa_dx10_clamp 1
		.amdhsa_ieee_mode 1
		.amdhsa_fp16_overflow 0
		.amdhsa_tg_split 0
		.amdhsa_exception_fp_ieee_invalid_op 0
		.amdhsa_exception_fp_denorm_src 0
		.amdhsa_exception_fp_ieee_div_zero 0
		.amdhsa_exception_fp_ieee_overflow 0
		.amdhsa_exception_fp_ieee_underflow 0
		.amdhsa_exception_fp_ieee_inexact 0
		.amdhsa_exception_int_div_zero 0
	.end_amdhsa_kernel
	.section	.text._ZN4vllm3moe17topkGatingSoftmaxILi4ELi8ELi4ELi16ELi64ElEEvPKfPKbPfiPT4_Piiii,"axG",@progbits,_ZN4vllm3moe17topkGatingSoftmaxILi4ELi8ELi4ELi16ELi64ElEEvPKfPKbPfiPT4_Piiii,comdat
.Lfunc_end51:
	.size	_ZN4vllm3moe17topkGatingSoftmaxILi4ELi8ELi4ELi16ELi64ElEEvPKfPKbPfiPT4_Piiii, .Lfunc_end51-_ZN4vllm3moe17topkGatingSoftmaxILi4ELi8ELi4ELi16ELi64ElEEvPKfPKbPfiPT4_Piiii
                                        ; -- End function
	.section	.AMDGPU.csdata,"",@progbits
; Kernel info:
; codeLenInByte = 1368
; NumSgprs: 25
; NumVgprs: 23
; NumAgprs: 0
; TotalNumVgprs: 23
; ScratchSize: 0
; MemoryBound: 0
; FloatMode: 240
; IeeeMode: 1
; LDSByteSize: 4096 bytes/workgroup (compile time only)
; SGPRBlocks: 3
; VGPRBlocks: 2
; NumSGPRsForWavesPerEU: 25
; NumVGPRsForWavesPerEU: 23
; AccumOffset: 24
; Occupancy: 8
; WaveLimiterHint : 0
; COMPUTE_PGM_RSRC2:SCRATCH_EN: 0
; COMPUTE_PGM_RSRC2:USER_SGPR: 8
; COMPUTE_PGM_RSRC2:TRAP_HANDLER: 0
; COMPUTE_PGM_RSRC2:TGID_X_EN: 1
; COMPUTE_PGM_RSRC2:TGID_Y_EN: 0
; COMPUTE_PGM_RSRC2:TGID_Z_EN: 0
; COMPUTE_PGM_RSRC2:TIDIG_COMP_CNT: 2
; COMPUTE_PGM_RSRC3_GFX90A:ACCUM_OFFSET: 5
; COMPUTE_PGM_RSRC3_GFX90A:TG_SPLIT: 0
	.section	.text._ZN4vllm3moe17topkGatingSoftmaxILi4ELi8ELi4ELi16ELi32ElEEvPKfPKbPfiPT4_Piiii,"axG",@progbits,_ZN4vllm3moe17topkGatingSoftmaxILi4ELi8ELi4ELi16ELi32ElEEvPKfPKbPfiPT4_Piiii,comdat
	.protected	_ZN4vllm3moe17topkGatingSoftmaxILi4ELi8ELi4ELi16ELi32ElEEvPKfPKbPfiPT4_Piiii ; -- Begin function _ZN4vllm3moe17topkGatingSoftmaxILi4ELi8ELi4ELi16ELi32ElEEvPKfPKbPfiPT4_Piiii
	.globl	_ZN4vllm3moe17topkGatingSoftmaxILi4ELi8ELi4ELi16ELi32ElEEvPKfPKbPfiPT4_Piiii
	.p2align	8
	.type	_ZN4vllm3moe17topkGatingSoftmaxILi4ELi8ELi4ELi16ELi32ElEEvPKfPKbPfiPT4_Piiii,@function
_ZN4vllm3moe17topkGatingSoftmaxILi4ELi8ELi4ELi16ELi32ElEEvPKfPKbPfiPT4_Piiii: ; @_ZN4vllm3moe17topkGatingSoftmaxILi4ELi8ELi4ELi16ELi32ElEEvPKfPKbPfiPT4_Piiii
; %bb.0:
	s_load_dword s20, s[6:7], 0x18
	v_and_b32_e32 v3, 0x3ff, v0
	v_bfe_u32 v4, v0, 10, 10
	s_lshl_b32 s0, s8, 6
	v_lshlrev_b32_e32 v1, 4, v4
	v_lshrrev_b32_e32 v2, 1, v3
	v_add3_u32 v1, s0, v1, v2
	s_waitcnt lgkmcnt(0)
	v_cmp_gt_i32_e32 vcc, s20, v1
	s_and_saveexec_b64 s[0:1], vcc
	s_cbranch_execz .LBB52_15
; %bb.1:
	s_load_dwordx4 s[0:3], s[6:7], 0x0
	s_load_dwordx2 s[12:13], s[6:7], 0x10
	s_waitcnt lgkmcnt(0)
	s_cmp_eq_u64 s[2:3], 0
	s_cbranch_scc1 .LBB52_3
; %bb.2:
	v_ashrrev_i32_e32 v2, 31, v1
	v_mov_b32_e32 v5, s3
	v_add_co_u32_e32 v6, vcc, s2, v1
	v_addc_co_u32_e32 v7, vcc, v5, v2, vcc
	global_load_ubyte v2, v[6:7], off
	s_waitcnt vmcnt(0)
	v_and_b32_e32 v2, 1, v2
	v_cmp_eq_u32_e32 vcc, 1, v2
	s_xor_b64 s[2:3], vcc, -1
	s_orn2_b64 s[14:15], s[2:3], exec
	s_branch .LBB52_4
.LBB52_3:
	s_mov_b64 s[14:15], -1
.LBB52_4:
	v_lshlrev_b32_e32 v6, 3, v1
	v_ashrrev_i32_e32 v7, 31, v6
	v_lshlrev_b64 v[6:7], 2, v[6:7]
	v_mov_b32_e32 v2, s1
	v_add_co_u32_e32 v5, vcc, s0, v6
	v_addc_co_u32_e32 v7, vcc, v2, v7, vcc
	v_and_b32_e32 v2, 1, v3
	v_lshlrev_b32_e32 v6, 4, v2
	v_add_co_u32_e32 v6, vcc, v5, v6
	v_addc_co_u32_e32 v7, vcc, 0, v7, vcc
	global_load_dwordx4 v[6:9], v[6:7], off
	v_bfe_u32 v5, v0, 20, 10
	v_mbcnt_lo_u32_b32 v0, -1, 0
	v_mbcnt_hi_u32_b32 v0, -1, v0
	v_and_b32_e32 v11, 0x7e, v0
	v_xor_b32_e32 v10, 1, v0
	v_add_u32_e32 v11, 2, v11
	v_cmp_lt_i32_e32 vcc, v10, v11
	v_cndmask_b32_e32 v0, v0, v10, vcc
	v_lshlrev_b32_e32 v0, 2, v0
	s_mov_b32 s2, 0x3fb8aa3b
	s_mov_b32 s3, 0xc2ce8ed0
	s_load_dwordx4 s[8:11], s[6:7], 0x30
	s_load_dwordx2 s[0:1], s[4:5], 0x4
	s_mov_b32 s4, 0x42b17218
	v_mov_b32_e32 v12, 0x7f800000
	s_waitcnt lgkmcnt(0)
	s_mov_b32 s11, 0
	s_lshr_b32 s0, s0, 16
	v_mul_u32_u24_e32 v4, s1, v4
	s_mul_i32 s0, s0, s1
	v_mad_u32_u24 v3, s0, v3, v4
	v_add_lshl_u32 v3, v3, v5, 4
	s_cmp_lt_i32 s8, 1
	s_waitcnt vmcnt(0)
	v_max_f32_e32 v10, v7, v7
	v_max_f32_e32 v11, v6, v6
	;; [unrolled: 1-line block ×3, first 2 shown]
	v_max3_f32 v10, v10, v8, v9
	ds_bpermute_b32 v11, v0, v10
	s_waitcnt lgkmcnt(0)
	v_max_f32_e32 v11, v11, v11
	v_max_f32_e32 v10, v10, v11
	v_pk_add_f32 v[8:9], v[8:9], v[10:11] op_sel_hi:[1,0] neg_lo:[0,1] neg_hi:[0,1]
	v_pk_add_f32 v[6:7], v[6:7], v[10:11] op_sel_hi:[1,0] neg_lo:[0,1] neg_hi:[0,1]
	v_mul_f32_e32 v10, 0x3fb8aa3b, v9
	v_mul_f32_e32 v11, 0x3fb8aa3b, v8
	v_fma_f32 v15, v9, s2, -v10
	v_rndne_f32_e32 v16, v10
	v_mul_f32_e32 v13, 0x3fb8aa3b, v7
	v_fma_f32 v17, v8, s2, -v11
	v_rndne_f32_e32 v18, v11
	v_fmac_f32_e32 v15, 0x32a5705f, v9
	v_sub_f32_e32 v10, v10, v16
	v_mul_f32_e32 v14, 0x3fb8aa3b, v6
	v_fma_f32 v19, v7, s2, -v13
	v_rndne_f32_e32 v20, v13
	v_fmac_f32_e32 v17, 0x32a5705f, v8
	v_sub_f32_e32 v11, v11, v18
	v_add_f32_e32 v10, v10, v15
	v_fma_f32 v21, v6, s2, -v14
	v_rndne_f32_e32 v22, v14
	v_cvt_i32_f32_e32 v16, v16
	v_fmac_f32_e32 v19, 0x32a5705f, v7
	v_sub_f32_e32 v13, v13, v20
	v_add_f32_e32 v11, v11, v17
	v_exp_f32_e32 v10, v10
	v_cvt_i32_f32_e32 v18, v18
	v_fmac_f32_e32 v21, 0x32a5705f, v6
	v_sub_f32_e32 v14, v14, v22
	v_add_f32_e32 v13, v13, v19
	v_exp_f32_e32 v11, v11
	v_cvt_i32_f32_e32 v20, v20
	v_add_f32_e32 v14, v14, v21
	v_exp_f32_e32 v13, v13
	v_cvt_i32_f32_e32 v22, v22
	v_exp_f32_e32 v14, v14
	v_ldexp_f32 v10, v10, v16
	v_cmp_ngt_f32_e32 vcc, s3, v9
	v_ldexp_f32 v11, v11, v18
	v_cndmask_b32_e32 v10, 0, v10, vcc
	v_cmp_ngt_f32_e32 vcc, s3, v8
	v_ldexp_f32 v13, v13, v20
	v_cndmask_b32_e32 v11, 0, v11, vcc
	;; [unrolled: 3-line block ×3, first 2 shown]
	v_cmp_ngt_f32_e32 vcc, s3, v6
	v_cndmask_b32_e32 v14, 0, v14, vcc
	v_cmp_nlt_f32_e32 vcc, s4, v9
	v_cndmask_b32_e32 v9, v12, v10, vcc
	v_cmp_nlt_f32_e32 vcc, s4, v8
	v_cndmask_b32_e32 v8, v12, v11, vcc
	v_cmp_nlt_f32_e32 vcc, s4, v7
	v_cndmask_b32_e32 v7, v12, v13, vcc
	v_cmp_nlt_f32_e32 vcc, s4, v6
	v_cndmask_b32_e32 v6, v12, v14, vcc
	v_add_f32_e32 v10, v6, v7
	v_add_f32_e32 v10, v10, v8
	;; [unrolled: 1-line block ×3, first 2 shown]
	ds_bpermute_b32 v11, v0, v10
	s_waitcnt lgkmcnt(0)
	v_add_f32_e32 v4, v10, v11
	v_div_scale_f32 v10, s[0:1], v4, v4, 1.0
	v_rcp_f32_e32 v11, v10
	v_div_scale_f32 v5, vcc, 1.0, v4, 1.0
	v_fma_f32 v12, -v10, v11, 1.0
	v_fmac_f32_e32 v11, v12, v11
	v_mul_f32_e32 v12, v5, v11
	v_fma_f32 v13, -v10, v12, v5
	v_fmac_f32_e32 v12, v13, v11
	v_fma_f32 v5, -v10, v12, v5
	v_div_fmas_f32 v5, v5, v11, v12
	v_div_fixup_f32 v10, v5, v4, 1.0
	v_pk_mul_f32 v[4:5], v[10:11], v[6:7] op_sel_hi:[0,1]
	v_pk_mul_f32 v[6:7], v[10:11], v[8:9] op_sel_hi:[0,1]
	ds_write_b128 v3, v[4:7]
	s_cbranch_scc1 .LBB52_15
; %bb.5:
	s_load_dwordx4 s[4:7], s[6:7], 0x20
	v_lshlrev_b32_e32 v4, 2, v2
	v_cmp_eq_u32_e32 vcc, 0, v2
	v_mul_lo_u32 v5, v1, s8
	v_mov_b32_e32 v6, 0xc61c4000
	s_branch .LBB52_7
.LBB52_6:                               ;   in Loop: Header=BB52_7 Depth=1
	s_or_b64 exec, exec, s[0:1]
	s_cmp_lg_u32 s8, s11
	v_add_u32_e32 v1, s20, v1
	s_cbranch_scc0 .LBB52_15
.LBB52_7:                               ; =>This Inner Loop Header: Depth=1
	ds_read_b128 v[8:11], v3
	s_waitcnt lgkmcnt(0)
	v_cmp_gt_f32_e64 s[0:1], v9, v8
	v_cndmask_b32_e64 v7, v8, v9, s[0:1]
	v_cndmask_b32_e64 v8, 0, 1, s[0:1]
	v_cmp_gt_f32_e64 s[0:1], v10, v7
	v_cndmask_b32_e64 v7, v7, v10, s[0:1]
	v_cndmask_b32_e64 v9, v8, 2, s[0:1]
	;; [unrolled: 3-line block ×3, first 2 shown]
	ds_bpermute_b32 v9, v0, v8
	v_or_b32_e32 v7, v4, v7
	ds_bpermute_b32 v10, v0, v7
	s_waitcnt lgkmcnt(1)
	v_cmp_lt_f32_e64 s[16:17], v8, v9
	v_cmp_nlt_f32_e64 s[0:1], v8, v9
	s_and_saveexec_b64 s[18:19], s[0:1]
	s_cbranch_execnz .LBB52_13
; %bb.8:                                ;   in Loop: Header=BB52_7 Depth=1
	s_or_b64 exec, exec, s[18:19]
	s_and_saveexec_b64 s[0:1], s[16:17]
	s_cbranch_execnz .LBB52_14
.LBB52_9:                               ;   in Loop: Header=BB52_7 Depth=1
	s_or_b64 exec, exec, s[0:1]
	s_and_saveexec_b64 s[16:17], vcc
	s_cbranch_execz .LBB52_11
.LBB52_10:                              ;   in Loop: Header=BB52_7 Depth=1
	s_waitcnt lgkmcnt(0)
	v_add_u32_e32 v10, s11, v5
	v_ashrrev_i32_e32 v11, 31, v10
	v_cmp_le_i32_e64 s[0:1], s9, v7
	v_cmp_gt_i32_e64 s[2:3], s10, v7
	v_lshlrev_b64 v[12:13], 2, v[10:11]
	s_and_b64 s[2:3], s[0:1], s[2:3]
	v_mov_b32_e32 v9, s13
	v_add_co_u32_e64 v14, s[0:1], s12, v12
	v_addc_co_u32_e64 v15, s[0:1], v9, v13, s[0:1]
	global_store_dword v[14:15], v8, off
	v_subrev_u32_e32 v8, s9, v7
	v_ashrrev_i32_e32 v9, 31, v8
	s_and_b64 s[0:1], s[14:15], s[2:3]
	v_lshlrev_b64 v[10:11], 3, v[10:11]
	v_cndmask_b32_e64 v9, 0, v9, s[0:1]
	v_cndmask_b32_e64 v8, 8, v8, s[0:1]
	v_mov_b32_e32 v14, s5
	v_add_co_u32_e64 v10, s[0:1], s4, v10
	v_addc_co_u32_e64 v11, s[0:1], v14, v11, s[0:1]
	global_store_dwordx2 v[10:11], v[8:9], off
	v_mov_b32_e32 v9, s7
	v_add_co_u32_e64 v8, s[0:1], s6, v12
	v_addc_co_u32_e64 v9, s[0:1], v9, v13, s[0:1]
	global_store_dword v[8:9], v1, off
.LBB52_11:                              ;   in Loop: Header=BB52_7 Depth=1
	s_or_b64 exec, exec, s[16:17]
	v_ashrrev_i32_e32 v8, 31, v7
	v_lshrrev_b32_e32 v9, 30, v8
	s_waitcnt lgkmcnt(0)
	v_add_u32_e32 v10, v7, v9
	v_ashrrev_i32_e32 v9, 2, v10
	v_lshrrev_b32_e32 v10, 31, v10
	v_add_u32_e32 v10, v9, v10
	s_add_i32 s11, s11, 1
	v_and_b32_e32 v10, -2, v10
	s_cmp_lt_i32 s11, s8
	v_sub_u32_e32 v10, v9, v10
	s_cselect_b64 s[2:3], -1, 0
	v_cmp_eq_u32_e64 s[0:1], v2, v10
	s_and_b64 s[2:3], s[2:3], s[0:1]
	s_and_saveexec_b64 s[0:1], s[2:3]
	s_cbranch_execz .LBB52_6
; %bb.12:                               ;   in Loop: Header=BB52_7 Depth=1
	v_lshrrev_b32_e32 v8, 29, v8
	v_add_u32_e32 v8, v7, v8
	v_lshlrev_b32_e32 v9, 2, v9
	v_lshrrev_b32_e32 v8, 1, v8
	v_sub_u32_e32 v7, v7, v9
	v_and_b32_e32 v8, 0x7ffffffc, v8
	v_add_u32_e32 v7, v8, v7
	v_lshl_add_u32 v7, v7, 2, v3
	ds_write_b32 v7, v6
	s_branch .LBB52_6
.LBB52_13:                              ;   in Loop: Header=BB52_7 Depth=1
	v_cmp_eq_f32_e64 s[0:1], v8, v9
	s_waitcnt lgkmcnt(0)
	v_cmp_lt_i32_e64 s[2:3], v10, v7
	s_and_b64 s[0:1], s[0:1], s[2:3]
	s_andn2_b64 s[2:3], s[16:17], exec
	s_and_b64 s[0:1], s[0:1], exec
	s_or_b64 s[16:17], s[2:3], s[0:1]
	s_or_b64 exec, exec, s[18:19]
	s_and_saveexec_b64 s[0:1], s[16:17]
	s_cbranch_execz .LBB52_9
.LBB52_14:                              ;   in Loop: Header=BB52_7 Depth=1
	v_mov_b32_e32 v8, v9
	s_waitcnt lgkmcnt(0)
	v_mov_b32_e32 v7, v10
	s_or_b64 exec, exec, s[0:1]
	s_and_saveexec_b64 s[16:17], vcc
	s_cbranch_execnz .LBB52_10
	s_branch .LBB52_11
.LBB52_15:
	s_endpgm
	.section	.rodata,"a",@progbits
	.p2align	6, 0x0
	.amdhsa_kernel _ZN4vllm3moe17topkGatingSoftmaxILi4ELi8ELi4ELi16ELi32ElEEvPKfPKbPfiPT4_Piiii
		.amdhsa_group_segment_fixed_size 2048
		.amdhsa_private_segment_fixed_size 0
		.amdhsa_kernarg_size 60
		.amdhsa_user_sgpr_count 8
		.amdhsa_user_sgpr_private_segment_buffer 1
		.amdhsa_user_sgpr_dispatch_ptr 1
		.amdhsa_user_sgpr_queue_ptr 0
		.amdhsa_user_sgpr_kernarg_segment_ptr 1
		.amdhsa_user_sgpr_dispatch_id 0
		.amdhsa_user_sgpr_flat_scratch_init 0
		.amdhsa_user_sgpr_kernarg_preload_length 0
		.amdhsa_user_sgpr_kernarg_preload_offset 0
		.amdhsa_user_sgpr_private_segment_size 0
		.amdhsa_uses_dynamic_stack 0
		.amdhsa_system_sgpr_private_segment_wavefront_offset 0
		.amdhsa_system_sgpr_workgroup_id_x 1
		.amdhsa_system_sgpr_workgroup_id_y 0
		.amdhsa_system_sgpr_workgroup_id_z 0
		.amdhsa_system_sgpr_workgroup_info 0
		.amdhsa_system_vgpr_workitem_id 2
		.amdhsa_next_free_vgpr 23
		.amdhsa_next_free_sgpr 21
		.amdhsa_accum_offset 24
		.amdhsa_reserve_vcc 1
		.amdhsa_reserve_flat_scratch 0
		.amdhsa_float_round_mode_32 0
		.amdhsa_float_round_mode_16_64 0
		.amdhsa_float_denorm_mode_32 3
		.amdhsa_float_denorm_mode_16_64 3
		.amdhsa_dx10_clamp 1
		.amdhsa_ieee_mode 1
		.amdhsa_fp16_overflow 0
		.amdhsa_tg_split 0
		.amdhsa_exception_fp_ieee_invalid_op 0
		.amdhsa_exception_fp_denorm_src 0
		.amdhsa_exception_fp_ieee_div_zero 0
		.amdhsa_exception_fp_ieee_overflow 0
		.amdhsa_exception_fp_ieee_underflow 0
		.amdhsa_exception_fp_ieee_inexact 0
		.amdhsa_exception_int_div_zero 0
	.end_amdhsa_kernel
	.section	.text._ZN4vllm3moe17topkGatingSoftmaxILi4ELi8ELi4ELi16ELi32ElEEvPKfPKbPfiPT4_Piiii,"axG",@progbits,_ZN4vllm3moe17topkGatingSoftmaxILi4ELi8ELi4ELi16ELi32ElEEvPKfPKbPfiPT4_Piiii,comdat
.Lfunc_end52:
	.size	_ZN4vllm3moe17topkGatingSoftmaxILi4ELi8ELi4ELi16ELi32ElEEvPKfPKbPfiPT4_Piiii, .Lfunc_end52-_ZN4vllm3moe17topkGatingSoftmaxILi4ELi8ELi4ELi16ELi32ElEEvPKfPKbPfiPT4_Piiii
                                        ; -- End function
	.section	.AMDGPU.csdata,"",@progbits
; Kernel info:
; codeLenInByte = 1364
; NumSgprs: 25
; NumVgprs: 23
; NumAgprs: 0
; TotalNumVgprs: 23
; ScratchSize: 0
; MemoryBound: 0
; FloatMode: 240
; IeeeMode: 1
; LDSByteSize: 2048 bytes/workgroup (compile time only)
; SGPRBlocks: 3
; VGPRBlocks: 2
; NumSGPRsForWavesPerEU: 25
; NumVGPRsForWavesPerEU: 23
; AccumOffset: 24
; Occupancy: 8
; WaveLimiterHint : 0
; COMPUTE_PGM_RSRC2:SCRATCH_EN: 0
; COMPUTE_PGM_RSRC2:USER_SGPR: 8
; COMPUTE_PGM_RSRC2:TRAP_HANDLER: 0
; COMPUTE_PGM_RSRC2:TGID_X_EN: 1
; COMPUTE_PGM_RSRC2:TGID_Y_EN: 0
; COMPUTE_PGM_RSRC2:TGID_Z_EN: 0
; COMPUTE_PGM_RSRC2:TIDIG_COMP_CNT: 2
; COMPUTE_PGM_RSRC3_GFX90A:ACCUM_OFFSET: 5
; COMPUTE_PGM_RSRC3_GFX90A:TG_SPLIT: 0
	.section	.text._ZN4vllm3moe17topkGatingSoftmaxILi4ELi16ELi4ELi16ELi64ElEEvPKfPKbPfiPT4_Piiii,"axG",@progbits,_ZN4vllm3moe17topkGatingSoftmaxILi4ELi16ELi4ELi16ELi64ElEEvPKfPKbPfiPT4_Piiii,comdat
	.protected	_ZN4vllm3moe17topkGatingSoftmaxILi4ELi16ELi4ELi16ELi64ElEEvPKfPKbPfiPT4_Piiii ; -- Begin function _ZN4vllm3moe17topkGatingSoftmaxILi4ELi16ELi4ELi16ELi64ElEEvPKfPKbPfiPT4_Piiii
	.globl	_ZN4vllm3moe17topkGatingSoftmaxILi4ELi16ELi4ELi16ELi64ElEEvPKfPKbPfiPT4_Piiii
	.p2align	8
	.type	_ZN4vllm3moe17topkGatingSoftmaxILi4ELi16ELi4ELi16ELi64ElEEvPKfPKbPfiPT4_Piiii,@function
_ZN4vllm3moe17topkGatingSoftmaxILi4ELi16ELi4ELi16ELi64ElEEvPKfPKbPfiPT4_Piiii: ; @_ZN4vllm3moe17topkGatingSoftmaxILi4ELi16ELi4ELi16ELi64ElEEvPKfPKbPfiPT4_Piiii
; %bb.0:
	s_load_dword s20, s[6:7], 0x18
	v_and_b32_e32 v5, 0x3ff, v0
	v_bfe_u32 v6, v0, 10, 10
	s_lshl_b32 s0, s8, 6
	v_lshlrev_b32_e32 v1, 4, v6
	v_lshrrev_b32_e32 v2, 2, v5
	v_add3_u32 v1, s0, v1, v2
	s_waitcnt lgkmcnt(0)
	v_cmp_gt_i32_e32 vcc, s20, v1
	s_and_saveexec_b64 s[0:1], vcc
	s_cbranch_execz .LBB53_19
; %bb.1:
	s_load_dwordx4 s[0:3], s[6:7], 0x0
	s_load_dwordx2 s[12:13], s[6:7], 0x10
	s_waitcnt lgkmcnt(0)
	s_cmp_eq_u64 s[2:3], 0
	s_cbranch_scc1 .LBB53_3
; %bb.2:
	v_ashrrev_i32_e32 v3, 31, v1
	v_mov_b32_e32 v4, s3
	v_add_co_u32_e32 v2, vcc, s2, v1
	v_addc_co_u32_e32 v3, vcc, v4, v3, vcc
	global_load_ubyte v2, v[2:3], off
	s_waitcnt vmcnt(0)
	v_and_b32_e32 v2, 1, v2
	v_cmp_eq_u32_e32 vcc, 1, v2
	s_xor_b64 s[2:3], vcc, -1
	s_orn2_b64 s[14:15], s[2:3], exec
	s_branch .LBB53_4
.LBB53_3:
	s_mov_b64 s[14:15], -1
.LBB53_4:
	v_lshlrev_b32_e32 v2, 4, v1
	v_ashrrev_i32_e32 v3, 31, v2
	v_lshlrev_b64 v[2:3], 2, v[2:3]
	v_mov_b32_e32 v4, s1
	v_add_co_u32_e32 v7, vcc, s0, v2
	v_and_b32_e32 v2, 3, v5
	v_addc_co_u32_e32 v3, vcc, v4, v3, vcc
	v_lshlrev_b32_e32 v4, 4, v2
	v_add_co_u32_e32 v8, vcc, v7, v4
	v_addc_co_u32_e32 v9, vcc, 0, v3, vcc
	global_load_dwordx4 v[8:11], v[8:9], off
	v_mbcnt_lo_u32_b32 v3, -1, 0
	v_mbcnt_hi_u32_b32 v4, -1, v3
	v_and_b32_e32 v3, 0x7c, v4
	v_xor_b32_e32 v7, 2, v4
	v_add_u32_e32 v12, 4, v3
	v_cmp_lt_i32_e32 vcc, v7, v12
	v_cndmask_b32_e32 v3, v4, v7, vcc
	v_lshlrev_b32_e32 v3, 2, v3
	v_xor_b32_e32 v14, 1, v4
	v_cmp_lt_i32_e32 vcc, v14, v12
	v_cndmask_b32_e32 v4, v4, v14, vcc
	v_lshlrev_b32_e32 v4, 2, v4
	s_mov_b32 s0, 0x3fb8aa3b
	s_mov_b32 s1, 0xc2ce8ed0
	;; [unrolled: 1-line block ×3, first 2 shown]
	v_bfe_u32 v0, v0, 20, 10
	s_waitcnt vmcnt(0)
	v_max_f32_e32 v7, v9, v9
	v_max_f32_e32 v13, v8, v8
	;; [unrolled: 1-line block ×3, first 2 shown]
	v_max3_f32 v7, v7, v10, v11
	ds_bpermute_b32 v13, v3, v7
	s_waitcnt lgkmcnt(0)
	v_max_f32_e32 v12, v13, v13
	v_max_f32_e32 v7, v7, v12
	ds_bpermute_b32 v12, v4, v7
	v_mov_b32_e32 v13, 0x7f800000
	s_waitcnt lgkmcnt(0)
	v_max_f32_e32 v12, v12, v12
	v_max_f32_e32 v12, v7, v12
	v_pk_add_f32 v[10:11], v[10:11], v[12:13] op_sel_hi:[1,0] neg_lo:[0,1] neg_hi:[0,1]
	v_mul_f32_e32 v7, 0x3fb8aa3b, v11
	v_pk_add_f32 v[8:9], v[8:9], v[12:13] op_sel_hi:[1,0] neg_lo:[0,1] neg_hi:[0,1]
	v_mul_f32_e32 v12, 0x3fb8aa3b, v10
	v_fma_f32 v16, v11, s0, -v7
	v_rndne_f32_e32 v17, v7
	v_mul_f32_e32 v14, 0x3fb8aa3b, v9
	v_fma_f32 v18, v10, s0, -v12
	v_rndne_f32_e32 v19, v12
	v_fmac_f32_e32 v16, 0x32a5705f, v11
	v_sub_f32_e32 v7, v7, v17
	v_mul_f32_e32 v15, 0x3fb8aa3b, v8
	v_fma_f32 v20, v9, s0, -v14
	v_rndne_f32_e32 v21, v14
	v_fmac_f32_e32 v18, 0x32a5705f, v10
	v_sub_f32_e32 v12, v12, v19
	v_add_f32_e32 v7, v7, v16
	v_fma_f32 v22, v8, s0, -v15
	v_rndne_f32_e32 v23, v15
	v_cvt_i32_f32_e32 v17, v17
	v_fmac_f32_e32 v20, 0x32a5705f, v9
	v_sub_f32_e32 v14, v14, v21
	v_add_f32_e32 v12, v12, v18
	v_exp_f32_e32 v7, v7
	v_cvt_i32_f32_e32 v19, v19
	v_fmac_f32_e32 v22, 0x32a5705f, v8
	v_sub_f32_e32 v15, v15, v23
	v_add_f32_e32 v14, v14, v20
	v_exp_f32_e32 v12, v12
	v_cvt_i32_f32_e32 v21, v21
	v_add_f32_e32 v15, v15, v22
	v_exp_f32_e32 v14, v14
	v_cvt_i32_f32_e32 v23, v23
	v_exp_f32_e32 v15, v15
	v_ldexp_f32 v7, v7, v17
	v_cmp_ngt_f32_e32 vcc, s1, v11
	v_ldexp_f32 v12, v12, v19
	v_cndmask_b32_e32 v7, 0, v7, vcc
	v_cmp_ngt_f32_e32 vcc, s1, v10
	v_ldexp_f32 v14, v14, v21
	v_cndmask_b32_e32 v12, 0, v12, vcc
	;; [unrolled: 3-line block ×3, first 2 shown]
	v_cmp_ngt_f32_e32 vcc, s1, v8
	v_cndmask_b32_e32 v15, 0, v15, vcc
	v_cmp_nlt_f32_e32 vcc, s2, v11
	v_cndmask_b32_e32 v11, v13, v7, vcc
	v_cmp_nlt_f32_e32 vcc, s2, v10
	;; [unrolled: 2-line block ×4, first 2 shown]
	v_cndmask_b32_e32 v8, v13, v15, vcc
	v_add_f32_e32 v7, v8, v9
	v_add_f32_e32 v7, v7, v10
	;; [unrolled: 1-line block ×3, first 2 shown]
	ds_bpermute_b32 v12, v3, v7
	s_load_dwordx4 s[8:11], s[6:7], 0x30
	s_load_dwordx2 s[0:1], s[4:5], 0x4
	s_waitcnt lgkmcnt(0)
	s_mov_b32 s11, 0
	v_add_f32_e32 v7, v7, v12
	ds_bpermute_b32 v12, v4, v7
	s_lshr_b32 s0, s0, 16
	s_mul_i32 s0, s0, s1
	v_mul_lo_u32 v5, s0, v5
	v_mad_u32_u24 v5, v6, s1, v5
	s_waitcnt lgkmcnt(0)
	v_add_f32_e32 v6, v7, v12
	v_div_scale_f32 v7, s[0:1], v6, v6, 1.0
	v_rcp_f32_e32 v12, v7
	v_add_lshl_u32 v0, v5, v0, 4
	v_div_scale_f32 v5, vcc, 1.0, v6, 1.0
	v_fma_f32 v13, -v7, v12, 1.0
	v_fmac_f32_e32 v12, v13, v12
	v_mul_f32_e32 v13, v5, v12
	v_fma_f32 v14, -v7, v13, v5
	v_fmac_f32_e32 v13, v14, v12
	v_fma_f32 v5, -v7, v13, v5
	v_div_fmas_f32 v5, v5, v12, v13
	v_div_fixup_f32 v12, v5, v6, 1.0
	v_pk_mul_f32 v[6:7], v[12:13], v[8:9] op_sel_hi:[0,1]
	v_pk_mul_f32 v[8:9], v[12:13], v[10:11] op_sel_hi:[0,1]
	s_cmp_lt_i32 s8, 1
	ds_write_b128 v0, v[6:9]
	s_cbranch_scc1 .LBB53_19
; %bb.5:
	s_load_dwordx4 s[4:7], s[6:7], 0x20
	v_lshlrev_b32_e32 v5, 2, v2
	v_cmp_eq_u32_e32 vcc, 0, v2
	v_mul_lo_u32 v6, v1, s8
	v_mov_b32_e32 v7, 0xc61c4000
	s_branch .LBB53_7
.LBB53_6:                               ;   in Loop: Header=BB53_7 Depth=1
	s_or_b64 exec, exec, s[0:1]
	s_cmp_lg_u32 s8, s11
	v_add_u32_e32 v1, s20, v1
	s_cbranch_scc0 .LBB53_19
.LBB53_7:                               ; =>This Inner Loop Header: Depth=1
	ds_read_b128 v[8:11], v0
	s_waitcnt lgkmcnt(0)
	v_cmp_gt_f32_e64 s[0:1], v9, v8
	v_cndmask_b32_e64 v8, v8, v9, s[0:1]
	v_cndmask_b32_e64 v9, 0, 1, s[0:1]
	v_cmp_gt_f32_e64 s[0:1], v10, v8
	v_cndmask_b32_e64 v8, v8, v10, s[0:1]
	v_cndmask_b32_e64 v10, v9, 2, s[0:1]
	;; [unrolled: 3-line block ×3, first 2 shown]
	ds_bpermute_b32 v10, v3, v9
	v_or_b32_e32 v8, v5, v8
	ds_bpermute_b32 v11, v3, v8
	s_waitcnt lgkmcnt(1)
	v_cmp_lt_f32_e64 s[16:17], v9, v10
	v_cmp_nlt_f32_e64 s[0:1], v9, v10
	s_and_saveexec_b64 s[18:19], s[0:1]
	s_cbranch_execz .LBB53_9
; %bb.8:                                ;   in Loop: Header=BB53_7 Depth=1
	v_cmp_eq_f32_e64 s[0:1], v9, v10
	s_waitcnt lgkmcnt(0)
	v_cmp_lt_i32_e64 s[2:3], v11, v8
	s_and_b64 s[0:1], s[0:1], s[2:3]
	s_andn2_b64 s[2:3], s[16:17], exec
	s_and_b64 s[0:1], s[0:1], exec
	s_or_b64 s[16:17], s[2:3], s[0:1]
.LBB53_9:                               ;   in Loop: Header=BB53_7 Depth=1
	s_or_b64 exec, exec, s[18:19]
	s_and_saveexec_b64 s[0:1], s[16:17]
	s_cbranch_execz .LBB53_11
; %bb.10:                               ;   in Loop: Header=BB53_7 Depth=1
	v_mov_b32_e32 v9, v10
	s_waitcnt lgkmcnt(0)
	v_mov_b32_e32 v8, v11
.LBB53_11:                              ;   in Loop: Header=BB53_7 Depth=1
	s_or_b64 exec, exec, s[0:1]
	ds_bpermute_b32 v10, v4, v9
	s_waitcnt lgkmcnt(1)
	ds_bpermute_b32 v11, v4, v8
	s_waitcnt lgkmcnt(1)
	v_cmp_lt_f32_e64 s[16:17], v9, v10
	v_cmp_nlt_f32_e64 s[0:1], v9, v10
	s_and_saveexec_b64 s[18:19], s[0:1]
	s_cbranch_execnz .LBB53_17
; %bb.12:                               ;   in Loop: Header=BB53_7 Depth=1
	s_or_b64 exec, exec, s[18:19]
	s_and_saveexec_b64 s[0:1], s[16:17]
	s_cbranch_execnz .LBB53_18
.LBB53_13:                              ;   in Loop: Header=BB53_7 Depth=1
	s_or_b64 exec, exec, s[0:1]
	s_and_saveexec_b64 s[16:17], vcc
	s_cbranch_execz .LBB53_15
.LBB53_14:                              ;   in Loop: Header=BB53_7 Depth=1
	v_add_u32_e32 v10, s11, v6
	s_waitcnt lgkmcnt(0)
	v_ashrrev_i32_e32 v11, 31, v10
	v_cmp_le_i32_e64 s[0:1], s9, v8
	v_cmp_gt_i32_e64 s[2:3], s10, v8
	v_lshlrev_b64 v[12:13], 2, v[10:11]
	s_and_b64 s[2:3], s[0:1], s[2:3]
	v_mov_b32_e32 v15, s13
	v_add_co_u32_e64 v14, s[0:1], s12, v12
	v_addc_co_u32_e64 v15, s[0:1], v15, v13, s[0:1]
	global_store_dword v[14:15], v9, off
	v_subrev_u32_e32 v9, s9, v8
	v_ashrrev_i32_e32 v14, 31, v9
	s_and_b64 s[0:1], s[14:15], s[2:3]
	v_lshlrev_b64 v[10:11], 3, v[10:11]
	v_cndmask_b32_e64 v15, 0, v14, s[0:1]
	v_cndmask_b32_e64 v14, 16, v9, s[0:1]
	v_mov_b32_e32 v9, s5
	v_add_co_u32_e64 v10, s[0:1], s4, v10
	v_addc_co_u32_e64 v11, s[0:1], v9, v11, s[0:1]
	global_store_dwordx2 v[10:11], v[14:15], off
	v_mov_b32_e32 v9, s7
	v_add_co_u32_e64 v10, s[0:1], s6, v12
	v_addc_co_u32_e64 v11, s[0:1], v9, v13, s[0:1]
	global_store_dword v[10:11], v1, off
.LBB53_15:                              ;   in Loop: Header=BB53_7 Depth=1
	s_or_b64 exec, exec, s[16:17]
	v_ashrrev_i32_e32 v9, 31, v8
	v_lshrrev_b32_e32 v10, 30, v9
	v_add_u32_e32 v10, v8, v10
	v_ashrrev_i32_e32 v10, 2, v10
	s_waitcnt lgkmcnt(0)
	v_lshrrev_b32_e32 v11, 30, v10
	v_add_u32_e32 v11, v10, v11
	s_add_i32 s11, s11, 1
	v_and_b32_e32 v11, -4, v11
	s_cmp_lt_i32 s11, s8
	v_sub_u32_e32 v11, v10, v11
	s_cselect_b64 s[2:3], -1, 0
	v_cmp_eq_u32_e64 s[0:1], v2, v11
	s_and_b64 s[2:3], s[2:3], s[0:1]
	s_and_saveexec_b64 s[0:1], s[2:3]
	s_cbranch_execz .LBB53_6
; %bb.16:                               ;   in Loop: Header=BB53_7 Depth=1
	v_lshrrev_b32_e32 v9, 28, v9
	v_add_u32_e32 v9, v8, v9
	v_lshlrev_b32_e32 v10, 2, v10
	v_lshrrev_b32_e32 v9, 2, v9
	v_sub_u32_e32 v8, v8, v10
	v_and_b32_e32 v9, 0x3ffffffc, v9
	v_add_u32_e32 v8, v9, v8
	v_lshl_add_u32 v8, v8, 2, v0
	ds_write_b32 v8, v7
	s_branch .LBB53_6
.LBB53_17:                              ;   in Loop: Header=BB53_7 Depth=1
	v_cmp_eq_f32_e64 s[0:1], v9, v10
	s_waitcnt lgkmcnt(0)
	v_cmp_lt_i32_e64 s[2:3], v11, v8
	s_and_b64 s[0:1], s[0:1], s[2:3]
	s_andn2_b64 s[2:3], s[16:17], exec
	s_and_b64 s[0:1], s[0:1], exec
	s_or_b64 s[16:17], s[2:3], s[0:1]
	s_or_b64 exec, exec, s[18:19]
	s_and_saveexec_b64 s[0:1], s[16:17]
	s_cbranch_execz .LBB53_13
.LBB53_18:                              ;   in Loop: Header=BB53_7 Depth=1
	v_mov_b32_e32 v9, v10
	s_waitcnt lgkmcnt(0)
	v_mov_b32_e32 v8, v11
	s_or_b64 exec, exec, s[0:1]
	s_and_saveexec_b64 s[16:17], vcc
	s_cbranch_execnz .LBB53_14
	s_branch .LBB53_15
.LBB53_19:
	s_endpgm
	.section	.rodata,"a",@progbits
	.p2align	6, 0x0
	.amdhsa_kernel _ZN4vllm3moe17topkGatingSoftmaxILi4ELi16ELi4ELi16ELi64ElEEvPKfPKbPfiPT4_Piiii
		.amdhsa_group_segment_fixed_size 4096
		.amdhsa_private_segment_fixed_size 0
		.amdhsa_kernarg_size 60
		.amdhsa_user_sgpr_count 8
		.amdhsa_user_sgpr_private_segment_buffer 1
		.amdhsa_user_sgpr_dispatch_ptr 1
		.amdhsa_user_sgpr_queue_ptr 0
		.amdhsa_user_sgpr_kernarg_segment_ptr 1
		.amdhsa_user_sgpr_dispatch_id 0
		.amdhsa_user_sgpr_flat_scratch_init 0
		.amdhsa_user_sgpr_kernarg_preload_length 0
		.amdhsa_user_sgpr_kernarg_preload_offset 0
		.amdhsa_user_sgpr_private_segment_size 0
		.amdhsa_uses_dynamic_stack 0
		.amdhsa_system_sgpr_private_segment_wavefront_offset 0
		.amdhsa_system_sgpr_workgroup_id_x 1
		.amdhsa_system_sgpr_workgroup_id_y 0
		.amdhsa_system_sgpr_workgroup_id_z 0
		.amdhsa_system_sgpr_workgroup_info 0
		.amdhsa_system_vgpr_workitem_id 2
		.amdhsa_next_free_vgpr 24
		.amdhsa_next_free_sgpr 21
		.amdhsa_accum_offset 24
		.amdhsa_reserve_vcc 1
		.amdhsa_reserve_flat_scratch 0
		.amdhsa_float_round_mode_32 0
		.amdhsa_float_round_mode_16_64 0
		.amdhsa_float_denorm_mode_32 3
		.amdhsa_float_denorm_mode_16_64 3
		.amdhsa_dx10_clamp 1
		.amdhsa_ieee_mode 1
		.amdhsa_fp16_overflow 0
		.amdhsa_tg_split 0
		.amdhsa_exception_fp_ieee_invalid_op 0
		.amdhsa_exception_fp_denorm_src 0
		.amdhsa_exception_fp_ieee_div_zero 0
		.amdhsa_exception_fp_ieee_overflow 0
		.amdhsa_exception_fp_ieee_underflow 0
		.amdhsa_exception_fp_ieee_inexact 0
		.amdhsa_exception_int_div_zero 0
	.end_amdhsa_kernel
	.section	.text._ZN4vllm3moe17topkGatingSoftmaxILi4ELi16ELi4ELi16ELi64ElEEvPKfPKbPfiPT4_Piiii,"axG",@progbits,_ZN4vllm3moe17topkGatingSoftmaxILi4ELi16ELi4ELi16ELi64ElEEvPKfPKbPfiPT4_Piiii,comdat
.Lfunc_end53:
	.size	_ZN4vllm3moe17topkGatingSoftmaxILi4ELi16ELi4ELi16ELi64ElEEvPKfPKbPfiPT4_Piiii, .Lfunc_end53-_ZN4vllm3moe17topkGatingSoftmaxILi4ELi16ELi4ELi16ELi64ElEEvPKfPKbPfiPT4_Piiii
                                        ; -- End function
	.section	.AMDGPU.csdata,"",@progbits
; Kernel info:
; codeLenInByte = 1528
; NumSgprs: 25
; NumVgprs: 24
; NumAgprs: 0
; TotalNumVgprs: 24
; ScratchSize: 0
; MemoryBound: 0
; FloatMode: 240
; IeeeMode: 1
; LDSByteSize: 4096 bytes/workgroup (compile time only)
; SGPRBlocks: 3
; VGPRBlocks: 2
; NumSGPRsForWavesPerEU: 25
; NumVGPRsForWavesPerEU: 24
; AccumOffset: 24
; Occupancy: 8
; WaveLimiterHint : 0
; COMPUTE_PGM_RSRC2:SCRATCH_EN: 0
; COMPUTE_PGM_RSRC2:USER_SGPR: 8
; COMPUTE_PGM_RSRC2:TRAP_HANDLER: 0
; COMPUTE_PGM_RSRC2:TGID_X_EN: 1
; COMPUTE_PGM_RSRC2:TGID_Y_EN: 0
; COMPUTE_PGM_RSRC2:TGID_Z_EN: 0
; COMPUTE_PGM_RSRC2:TIDIG_COMP_CNT: 2
; COMPUTE_PGM_RSRC3_GFX90A:ACCUM_OFFSET: 5
; COMPUTE_PGM_RSRC3_GFX90A:TG_SPLIT: 0
	.section	.text._ZN4vllm3moe17topkGatingSoftmaxILi4ELi16ELi4ELi16ELi32ElEEvPKfPKbPfiPT4_Piiii,"axG",@progbits,_ZN4vllm3moe17topkGatingSoftmaxILi4ELi16ELi4ELi16ELi32ElEEvPKfPKbPfiPT4_Piiii,comdat
	.protected	_ZN4vllm3moe17topkGatingSoftmaxILi4ELi16ELi4ELi16ELi32ElEEvPKfPKbPfiPT4_Piiii ; -- Begin function _ZN4vllm3moe17topkGatingSoftmaxILi4ELi16ELi4ELi16ELi32ElEEvPKfPKbPfiPT4_Piiii
	.globl	_ZN4vllm3moe17topkGatingSoftmaxILi4ELi16ELi4ELi16ELi32ElEEvPKfPKbPfiPT4_Piiii
	.p2align	8
	.type	_ZN4vllm3moe17topkGatingSoftmaxILi4ELi16ELi4ELi16ELi32ElEEvPKfPKbPfiPT4_Piiii,@function
_ZN4vllm3moe17topkGatingSoftmaxILi4ELi16ELi4ELi16ELi32ElEEvPKfPKbPfiPT4_Piiii: ; @_ZN4vllm3moe17topkGatingSoftmaxILi4ELi16ELi4ELi16ELi32ElEEvPKfPKbPfiPT4_Piiii
; %bb.0:
	s_load_dword s20, s[6:7], 0x18
	v_and_b32_e32 v5, 0x3ff, v0
	v_bfe_u32 v6, v0, 10, 10
	s_lshl_b32 s0, s8, 5
	v_lshlrev_b32_e32 v1, 3, v6
	v_lshrrev_b32_e32 v2, 2, v5
	v_add3_u32 v1, s0, v1, v2
	s_waitcnt lgkmcnt(0)
	v_cmp_gt_i32_e32 vcc, s20, v1
	s_and_saveexec_b64 s[0:1], vcc
	s_cbranch_execz .LBB54_19
; %bb.1:
	s_load_dwordx4 s[0:3], s[6:7], 0x0
	s_load_dwordx2 s[12:13], s[6:7], 0x10
	s_waitcnt lgkmcnt(0)
	s_cmp_eq_u64 s[2:3], 0
	s_cbranch_scc1 .LBB54_3
; %bb.2:
	v_ashrrev_i32_e32 v3, 31, v1
	v_mov_b32_e32 v4, s3
	v_add_co_u32_e32 v2, vcc, s2, v1
	v_addc_co_u32_e32 v3, vcc, v4, v3, vcc
	global_load_ubyte v2, v[2:3], off
	s_waitcnt vmcnt(0)
	v_and_b32_e32 v2, 1, v2
	v_cmp_eq_u32_e32 vcc, 1, v2
	s_xor_b64 s[2:3], vcc, -1
	s_orn2_b64 s[14:15], s[2:3], exec
	s_branch .LBB54_4
.LBB54_3:
	s_mov_b64 s[14:15], -1
.LBB54_4:
	v_lshlrev_b32_e32 v2, 4, v1
	v_ashrrev_i32_e32 v3, 31, v2
	v_lshlrev_b64 v[2:3], 2, v[2:3]
	v_mov_b32_e32 v4, s1
	v_add_co_u32_e32 v7, vcc, s0, v2
	v_and_b32_e32 v2, 3, v5
	v_addc_co_u32_e32 v3, vcc, v4, v3, vcc
	v_lshlrev_b32_e32 v4, 4, v2
	v_add_co_u32_e32 v8, vcc, v7, v4
	v_addc_co_u32_e32 v9, vcc, 0, v3, vcc
	global_load_dwordx4 v[8:11], v[8:9], off
	v_mbcnt_lo_u32_b32 v3, -1, 0
	v_mbcnt_hi_u32_b32 v4, -1, v3
	v_and_b32_e32 v3, 0x7c, v4
	v_xor_b32_e32 v7, 2, v4
	v_add_u32_e32 v12, 4, v3
	v_cmp_lt_i32_e32 vcc, v7, v12
	v_cndmask_b32_e32 v3, v4, v7, vcc
	v_lshlrev_b32_e32 v3, 2, v3
	v_xor_b32_e32 v14, 1, v4
	v_cmp_lt_i32_e32 vcc, v14, v12
	v_cndmask_b32_e32 v4, v4, v14, vcc
	v_lshlrev_b32_e32 v4, 2, v4
	s_mov_b32 s0, 0x3fb8aa3b
	s_mov_b32 s1, 0xc2ce8ed0
	;; [unrolled: 1-line block ×3, first 2 shown]
	v_bfe_u32 v0, v0, 20, 10
	s_waitcnt vmcnt(0)
	v_max_f32_e32 v7, v9, v9
	v_max_f32_e32 v13, v8, v8
	;; [unrolled: 1-line block ×3, first 2 shown]
	v_max3_f32 v7, v7, v10, v11
	ds_bpermute_b32 v13, v3, v7
	s_waitcnt lgkmcnt(0)
	v_max_f32_e32 v12, v13, v13
	v_max_f32_e32 v7, v7, v12
	ds_bpermute_b32 v12, v4, v7
	v_mov_b32_e32 v13, 0x7f800000
	s_waitcnt lgkmcnt(0)
	v_max_f32_e32 v12, v12, v12
	v_max_f32_e32 v12, v7, v12
	v_pk_add_f32 v[10:11], v[10:11], v[12:13] op_sel_hi:[1,0] neg_lo:[0,1] neg_hi:[0,1]
	v_mul_f32_e32 v7, 0x3fb8aa3b, v11
	v_pk_add_f32 v[8:9], v[8:9], v[12:13] op_sel_hi:[1,0] neg_lo:[0,1] neg_hi:[0,1]
	v_mul_f32_e32 v12, 0x3fb8aa3b, v10
	v_fma_f32 v16, v11, s0, -v7
	v_rndne_f32_e32 v17, v7
	v_mul_f32_e32 v14, 0x3fb8aa3b, v9
	v_fma_f32 v18, v10, s0, -v12
	v_rndne_f32_e32 v19, v12
	v_fmac_f32_e32 v16, 0x32a5705f, v11
	v_sub_f32_e32 v7, v7, v17
	v_mul_f32_e32 v15, 0x3fb8aa3b, v8
	v_fma_f32 v20, v9, s0, -v14
	v_rndne_f32_e32 v21, v14
	v_fmac_f32_e32 v18, 0x32a5705f, v10
	v_sub_f32_e32 v12, v12, v19
	v_add_f32_e32 v7, v7, v16
	v_fma_f32 v22, v8, s0, -v15
	v_rndne_f32_e32 v23, v15
	v_cvt_i32_f32_e32 v17, v17
	v_fmac_f32_e32 v20, 0x32a5705f, v9
	v_sub_f32_e32 v14, v14, v21
	v_add_f32_e32 v12, v12, v18
	v_exp_f32_e32 v7, v7
	v_cvt_i32_f32_e32 v19, v19
	v_fmac_f32_e32 v22, 0x32a5705f, v8
	v_sub_f32_e32 v15, v15, v23
	v_add_f32_e32 v14, v14, v20
	v_exp_f32_e32 v12, v12
	v_cvt_i32_f32_e32 v21, v21
	v_add_f32_e32 v15, v15, v22
	v_exp_f32_e32 v14, v14
	v_cvt_i32_f32_e32 v23, v23
	v_exp_f32_e32 v15, v15
	v_ldexp_f32 v7, v7, v17
	v_cmp_ngt_f32_e32 vcc, s1, v11
	v_ldexp_f32 v12, v12, v19
	v_cndmask_b32_e32 v7, 0, v7, vcc
	v_cmp_ngt_f32_e32 vcc, s1, v10
	v_ldexp_f32 v14, v14, v21
	v_cndmask_b32_e32 v12, 0, v12, vcc
	;; [unrolled: 3-line block ×3, first 2 shown]
	v_cmp_ngt_f32_e32 vcc, s1, v8
	v_cndmask_b32_e32 v15, 0, v15, vcc
	v_cmp_nlt_f32_e32 vcc, s2, v11
	v_cndmask_b32_e32 v11, v13, v7, vcc
	v_cmp_nlt_f32_e32 vcc, s2, v10
	;; [unrolled: 2-line block ×4, first 2 shown]
	v_cndmask_b32_e32 v8, v13, v15, vcc
	v_add_f32_e32 v7, v8, v9
	v_add_f32_e32 v7, v7, v10
	;; [unrolled: 1-line block ×3, first 2 shown]
	ds_bpermute_b32 v12, v3, v7
	s_load_dwordx4 s[8:11], s[6:7], 0x30
	s_load_dwordx2 s[0:1], s[4:5], 0x4
	s_waitcnt lgkmcnt(0)
	s_mov_b32 s11, 0
	v_add_f32_e32 v7, v7, v12
	ds_bpermute_b32 v12, v4, v7
	s_lshr_b32 s0, s0, 16
	v_mul_u32_u24_e32 v6, s1, v6
	s_mul_i32 s0, s0, s1
	v_mad_u32_u24 v5, s0, v5, v6
	s_waitcnt lgkmcnt(0)
	v_add_f32_e32 v6, v7, v12
	v_div_scale_f32 v7, s[0:1], v6, v6, 1.0
	v_rcp_f32_e32 v12, v7
	v_add_lshl_u32 v0, v5, v0, 4
	v_div_scale_f32 v5, vcc, 1.0, v6, 1.0
	v_fma_f32 v13, -v7, v12, 1.0
	v_fmac_f32_e32 v12, v13, v12
	v_mul_f32_e32 v13, v5, v12
	v_fma_f32 v14, -v7, v13, v5
	v_fmac_f32_e32 v13, v14, v12
	v_fma_f32 v5, -v7, v13, v5
	v_div_fmas_f32 v5, v5, v12, v13
	v_div_fixup_f32 v12, v5, v6, 1.0
	v_pk_mul_f32 v[6:7], v[12:13], v[8:9] op_sel_hi:[0,1]
	v_pk_mul_f32 v[8:9], v[12:13], v[10:11] op_sel_hi:[0,1]
	s_cmp_lt_i32 s8, 1
	ds_write_b128 v0, v[6:9]
	s_cbranch_scc1 .LBB54_19
; %bb.5:
	s_load_dwordx4 s[4:7], s[6:7], 0x20
	v_lshlrev_b32_e32 v5, 2, v2
	v_cmp_eq_u32_e32 vcc, 0, v2
	v_mul_lo_u32 v6, v1, s8
	v_mov_b32_e32 v7, 0xc61c4000
	s_branch .LBB54_7
.LBB54_6:                               ;   in Loop: Header=BB54_7 Depth=1
	s_or_b64 exec, exec, s[0:1]
	s_cmp_lg_u32 s8, s11
	v_add_u32_e32 v1, s20, v1
	s_cbranch_scc0 .LBB54_19
.LBB54_7:                               ; =>This Inner Loop Header: Depth=1
	ds_read_b128 v[8:11], v0
	s_waitcnt lgkmcnt(0)
	v_cmp_gt_f32_e64 s[0:1], v9, v8
	v_cndmask_b32_e64 v8, v8, v9, s[0:1]
	v_cndmask_b32_e64 v9, 0, 1, s[0:1]
	v_cmp_gt_f32_e64 s[0:1], v10, v8
	v_cndmask_b32_e64 v8, v8, v10, s[0:1]
	v_cndmask_b32_e64 v10, v9, 2, s[0:1]
	;; [unrolled: 3-line block ×3, first 2 shown]
	ds_bpermute_b32 v10, v3, v9
	v_or_b32_e32 v8, v5, v8
	ds_bpermute_b32 v11, v3, v8
	s_waitcnt lgkmcnt(1)
	v_cmp_lt_f32_e64 s[16:17], v9, v10
	v_cmp_nlt_f32_e64 s[0:1], v9, v10
	s_and_saveexec_b64 s[18:19], s[0:1]
	s_cbranch_execz .LBB54_9
; %bb.8:                                ;   in Loop: Header=BB54_7 Depth=1
	v_cmp_eq_f32_e64 s[0:1], v9, v10
	s_waitcnt lgkmcnt(0)
	v_cmp_lt_i32_e64 s[2:3], v11, v8
	s_and_b64 s[0:1], s[0:1], s[2:3]
	s_andn2_b64 s[2:3], s[16:17], exec
	s_and_b64 s[0:1], s[0:1], exec
	s_or_b64 s[16:17], s[2:3], s[0:1]
.LBB54_9:                               ;   in Loop: Header=BB54_7 Depth=1
	s_or_b64 exec, exec, s[18:19]
	s_and_saveexec_b64 s[0:1], s[16:17]
	s_cbranch_execz .LBB54_11
; %bb.10:                               ;   in Loop: Header=BB54_7 Depth=1
	v_mov_b32_e32 v9, v10
	s_waitcnt lgkmcnt(0)
	v_mov_b32_e32 v8, v11
.LBB54_11:                              ;   in Loop: Header=BB54_7 Depth=1
	s_or_b64 exec, exec, s[0:1]
	ds_bpermute_b32 v10, v4, v9
	s_waitcnt lgkmcnt(1)
	ds_bpermute_b32 v11, v4, v8
	s_waitcnt lgkmcnt(1)
	v_cmp_lt_f32_e64 s[16:17], v9, v10
	v_cmp_nlt_f32_e64 s[0:1], v9, v10
	s_and_saveexec_b64 s[18:19], s[0:1]
	s_cbranch_execnz .LBB54_17
; %bb.12:                               ;   in Loop: Header=BB54_7 Depth=1
	s_or_b64 exec, exec, s[18:19]
	s_and_saveexec_b64 s[0:1], s[16:17]
	s_cbranch_execnz .LBB54_18
.LBB54_13:                              ;   in Loop: Header=BB54_7 Depth=1
	s_or_b64 exec, exec, s[0:1]
	s_and_saveexec_b64 s[16:17], vcc
	s_cbranch_execz .LBB54_15
.LBB54_14:                              ;   in Loop: Header=BB54_7 Depth=1
	v_add_u32_e32 v10, s11, v6
	s_waitcnt lgkmcnt(0)
	v_ashrrev_i32_e32 v11, 31, v10
	v_cmp_le_i32_e64 s[0:1], s9, v8
	v_cmp_gt_i32_e64 s[2:3], s10, v8
	v_lshlrev_b64 v[12:13], 2, v[10:11]
	s_and_b64 s[2:3], s[0:1], s[2:3]
	v_mov_b32_e32 v15, s13
	v_add_co_u32_e64 v14, s[0:1], s12, v12
	v_addc_co_u32_e64 v15, s[0:1], v15, v13, s[0:1]
	global_store_dword v[14:15], v9, off
	v_subrev_u32_e32 v9, s9, v8
	v_ashrrev_i32_e32 v14, 31, v9
	s_and_b64 s[0:1], s[14:15], s[2:3]
	v_lshlrev_b64 v[10:11], 3, v[10:11]
	v_cndmask_b32_e64 v15, 0, v14, s[0:1]
	v_cndmask_b32_e64 v14, 16, v9, s[0:1]
	v_mov_b32_e32 v9, s5
	v_add_co_u32_e64 v10, s[0:1], s4, v10
	v_addc_co_u32_e64 v11, s[0:1], v9, v11, s[0:1]
	global_store_dwordx2 v[10:11], v[14:15], off
	v_mov_b32_e32 v9, s7
	v_add_co_u32_e64 v10, s[0:1], s6, v12
	v_addc_co_u32_e64 v11, s[0:1], v9, v13, s[0:1]
	global_store_dword v[10:11], v1, off
.LBB54_15:                              ;   in Loop: Header=BB54_7 Depth=1
	s_or_b64 exec, exec, s[16:17]
	v_ashrrev_i32_e32 v9, 31, v8
	v_lshrrev_b32_e32 v10, 30, v9
	v_add_u32_e32 v10, v8, v10
	v_ashrrev_i32_e32 v10, 2, v10
	s_waitcnt lgkmcnt(0)
	v_lshrrev_b32_e32 v11, 30, v10
	v_add_u32_e32 v11, v10, v11
	s_add_i32 s11, s11, 1
	v_and_b32_e32 v11, -4, v11
	s_cmp_lt_i32 s11, s8
	v_sub_u32_e32 v11, v10, v11
	s_cselect_b64 s[2:3], -1, 0
	v_cmp_eq_u32_e64 s[0:1], v2, v11
	s_and_b64 s[2:3], s[2:3], s[0:1]
	s_and_saveexec_b64 s[0:1], s[2:3]
	s_cbranch_execz .LBB54_6
; %bb.16:                               ;   in Loop: Header=BB54_7 Depth=1
	v_lshrrev_b32_e32 v9, 28, v9
	v_add_u32_e32 v9, v8, v9
	v_lshlrev_b32_e32 v10, 2, v10
	v_lshrrev_b32_e32 v9, 2, v9
	v_sub_u32_e32 v8, v8, v10
	v_and_b32_e32 v9, 0x3ffffffc, v9
	v_add_u32_e32 v8, v9, v8
	v_lshl_add_u32 v8, v8, 2, v0
	ds_write_b32 v8, v7
	s_branch .LBB54_6
.LBB54_17:                              ;   in Loop: Header=BB54_7 Depth=1
	v_cmp_eq_f32_e64 s[0:1], v9, v10
	s_waitcnt lgkmcnt(0)
	v_cmp_lt_i32_e64 s[2:3], v11, v8
	s_and_b64 s[0:1], s[0:1], s[2:3]
	s_andn2_b64 s[2:3], s[16:17], exec
	s_and_b64 s[0:1], s[0:1], exec
	s_or_b64 s[16:17], s[2:3], s[0:1]
	s_or_b64 exec, exec, s[18:19]
	s_and_saveexec_b64 s[0:1], s[16:17]
	s_cbranch_execz .LBB54_13
.LBB54_18:                              ;   in Loop: Header=BB54_7 Depth=1
	v_mov_b32_e32 v9, v10
	s_waitcnt lgkmcnt(0)
	v_mov_b32_e32 v8, v11
	s_or_b64 exec, exec, s[0:1]
	s_and_saveexec_b64 s[16:17], vcc
	s_cbranch_execnz .LBB54_14
	s_branch .LBB54_15
.LBB54_19:
	s_endpgm
	.section	.rodata,"a",@progbits
	.p2align	6, 0x0
	.amdhsa_kernel _ZN4vllm3moe17topkGatingSoftmaxILi4ELi16ELi4ELi16ELi32ElEEvPKfPKbPfiPT4_Piiii
		.amdhsa_group_segment_fixed_size 2048
		.amdhsa_private_segment_fixed_size 0
		.amdhsa_kernarg_size 60
		.amdhsa_user_sgpr_count 8
		.amdhsa_user_sgpr_private_segment_buffer 1
		.amdhsa_user_sgpr_dispatch_ptr 1
		.amdhsa_user_sgpr_queue_ptr 0
		.amdhsa_user_sgpr_kernarg_segment_ptr 1
		.amdhsa_user_sgpr_dispatch_id 0
		.amdhsa_user_sgpr_flat_scratch_init 0
		.amdhsa_user_sgpr_kernarg_preload_length 0
		.amdhsa_user_sgpr_kernarg_preload_offset 0
		.amdhsa_user_sgpr_private_segment_size 0
		.amdhsa_uses_dynamic_stack 0
		.amdhsa_system_sgpr_private_segment_wavefront_offset 0
		.amdhsa_system_sgpr_workgroup_id_x 1
		.amdhsa_system_sgpr_workgroup_id_y 0
		.amdhsa_system_sgpr_workgroup_id_z 0
		.amdhsa_system_sgpr_workgroup_info 0
		.amdhsa_system_vgpr_workitem_id 2
		.amdhsa_next_free_vgpr 24
		.amdhsa_next_free_sgpr 21
		.amdhsa_accum_offset 24
		.amdhsa_reserve_vcc 1
		.amdhsa_reserve_flat_scratch 0
		.amdhsa_float_round_mode_32 0
		.amdhsa_float_round_mode_16_64 0
		.amdhsa_float_denorm_mode_32 3
		.amdhsa_float_denorm_mode_16_64 3
		.amdhsa_dx10_clamp 1
		.amdhsa_ieee_mode 1
		.amdhsa_fp16_overflow 0
		.amdhsa_tg_split 0
		.amdhsa_exception_fp_ieee_invalid_op 0
		.amdhsa_exception_fp_denorm_src 0
		.amdhsa_exception_fp_ieee_div_zero 0
		.amdhsa_exception_fp_ieee_overflow 0
		.amdhsa_exception_fp_ieee_underflow 0
		.amdhsa_exception_fp_ieee_inexact 0
		.amdhsa_exception_int_div_zero 0
	.end_amdhsa_kernel
	.section	.text._ZN4vllm3moe17topkGatingSoftmaxILi4ELi16ELi4ELi16ELi32ElEEvPKfPKbPfiPT4_Piiii,"axG",@progbits,_ZN4vllm3moe17topkGatingSoftmaxILi4ELi16ELi4ELi16ELi32ElEEvPKfPKbPfiPT4_Piiii,comdat
.Lfunc_end54:
	.size	_ZN4vllm3moe17topkGatingSoftmaxILi4ELi16ELi4ELi16ELi32ElEEvPKfPKbPfiPT4_Piiii, .Lfunc_end54-_ZN4vllm3moe17topkGatingSoftmaxILi4ELi16ELi4ELi16ELi32ElEEvPKfPKbPfiPT4_Piiii
                                        ; -- End function
	.section	.AMDGPU.csdata,"",@progbits
; Kernel info:
; codeLenInByte = 1524
; NumSgprs: 25
; NumVgprs: 24
; NumAgprs: 0
; TotalNumVgprs: 24
; ScratchSize: 0
; MemoryBound: 0
; FloatMode: 240
; IeeeMode: 1
; LDSByteSize: 2048 bytes/workgroup (compile time only)
; SGPRBlocks: 3
; VGPRBlocks: 2
; NumSGPRsForWavesPerEU: 25
; NumVGPRsForWavesPerEU: 24
; AccumOffset: 24
; Occupancy: 8
; WaveLimiterHint : 0
; COMPUTE_PGM_RSRC2:SCRATCH_EN: 0
; COMPUTE_PGM_RSRC2:USER_SGPR: 8
; COMPUTE_PGM_RSRC2:TRAP_HANDLER: 0
; COMPUTE_PGM_RSRC2:TGID_X_EN: 1
; COMPUTE_PGM_RSRC2:TGID_Y_EN: 0
; COMPUTE_PGM_RSRC2:TGID_Z_EN: 0
; COMPUTE_PGM_RSRC2:TIDIG_COMP_CNT: 2
; COMPUTE_PGM_RSRC3_GFX90A:ACCUM_OFFSET: 5
; COMPUTE_PGM_RSRC3_GFX90A:TG_SPLIT: 0
	.section	.text._ZN4vllm3moe17topkGatingSoftmaxILi4ELi32ELi4ELi16ELi64ElEEvPKfPKbPfiPT4_Piiii,"axG",@progbits,_ZN4vllm3moe17topkGatingSoftmaxILi4ELi32ELi4ELi16ELi64ElEEvPKfPKbPfiPT4_Piiii,comdat
	.protected	_ZN4vllm3moe17topkGatingSoftmaxILi4ELi32ELi4ELi16ELi64ElEEvPKfPKbPfiPT4_Piiii ; -- Begin function _ZN4vllm3moe17topkGatingSoftmaxILi4ELi32ELi4ELi16ELi64ElEEvPKfPKbPfiPT4_Piiii
	.globl	_ZN4vllm3moe17topkGatingSoftmaxILi4ELi32ELi4ELi16ELi64ElEEvPKfPKbPfiPT4_Piiii
	.p2align	8
	.type	_ZN4vllm3moe17topkGatingSoftmaxILi4ELi32ELi4ELi16ELi64ElEEvPKfPKbPfiPT4_Piiii,@function
_ZN4vllm3moe17topkGatingSoftmaxILi4ELi32ELi4ELi16ELi64ElEEvPKfPKbPfiPT4_Piiii: ; @_ZN4vllm3moe17topkGatingSoftmaxILi4ELi32ELi4ELi16ELi64ElEEvPKfPKbPfiPT4_Piiii
; %bb.0:
	s_load_dword s20, s[6:7], 0x18
	v_and_b32_e32 v6, 0x3ff, v0
	v_bfe_u32 v7, v0, 10, 10
	s_lshl_b32 s0, s8, 5
	v_lshlrev_b32_e32 v1, 3, v7
	v_lshrrev_b32_e32 v2, 3, v6
	v_add3_u32 v1, s0, v1, v2
	s_waitcnt lgkmcnt(0)
	v_cmp_gt_i32_e32 vcc, s20, v1
	s_and_saveexec_b64 s[0:1], vcc
	s_cbranch_execz .LBB55_23
; %bb.1:
	s_load_dwordx4 s[0:3], s[6:7], 0x0
	s_load_dwordx2 s[12:13], s[6:7], 0x10
	s_waitcnt lgkmcnt(0)
	s_cmp_eq_u64 s[2:3], 0
	s_cbranch_scc1 .LBB55_3
; %bb.2:
	v_ashrrev_i32_e32 v3, 31, v1
	v_mov_b32_e32 v4, s3
	v_add_co_u32_e32 v2, vcc, s2, v1
	v_addc_co_u32_e32 v3, vcc, v4, v3, vcc
	global_load_ubyte v2, v[2:3], off
	s_waitcnt vmcnt(0)
	v_and_b32_e32 v2, 1, v2
	v_cmp_eq_u32_e32 vcc, 1, v2
	s_xor_b64 s[2:3], vcc, -1
	s_orn2_b64 s[14:15], s[2:3], exec
	s_branch .LBB55_4
.LBB55_3:
	s_mov_b64 s[14:15], -1
.LBB55_4:
	v_lshlrev_b32_e32 v2, 5, v1
	v_ashrrev_i32_e32 v3, 31, v2
	v_lshlrev_b64 v[2:3], 2, v[2:3]
	v_mov_b32_e32 v4, s1
	v_add_co_u32_e32 v5, vcc, s0, v2
	v_and_b32_e32 v2, 7, v6
	v_addc_co_u32_e32 v3, vcc, v4, v3, vcc
	v_lshlrev_b32_e32 v4, 4, v2
	v_add_co_u32_e32 v4, vcc, v5, v4
	v_addc_co_u32_e32 v5, vcc, 0, v3, vcc
	global_load_dwordx4 v[8:11], v[4:5], off
	v_mbcnt_lo_u32_b32 v3, -1, 0
	v_mbcnt_hi_u32_b32 v5, -1, v3
	v_and_b32_e32 v3, 0x78, v5
	v_xor_b32_e32 v4, 4, v5
	v_add_u32_e32 v12, 8, v3
	v_cmp_lt_i32_e32 vcc, v4, v12
	v_cndmask_b32_e32 v3, v5, v4, vcc
	v_lshlrev_b32_e32 v3, 2, v3
	v_xor_b32_e32 v15, 1, v5
	s_mov_b32 s0, 0x3fb8aa3b
	s_mov_b32 s1, 0xc2ce8ed0
	;; [unrolled: 1-line block ×3, first 2 shown]
	v_bfe_u32 v0, v0, 20, 10
	s_waitcnt vmcnt(0)
	v_max_f32_e32 v4, v9, v9
	v_max_f32_e32 v13, v8, v8
	;; [unrolled: 1-line block ×3, first 2 shown]
	v_max3_f32 v13, v4, v10, v11
	ds_bpermute_b32 v14, v3, v13
	v_xor_b32_e32 v4, 2, v5
	v_cmp_lt_i32_e32 vcc, v4, v12
	v_cndmask_b32_e32 v4, v5, v4, vcc
	v_lshlrev_b32_e32 v4, 2, v4
	s_waitcnt lgkmcnt(0)
	v_max_f32_e32 v14, v14, v14
	v_max_f32_e32 v13, v13, v14
	ds_bpermute_b32 v14, v4, v13
	v_cmp_lt_i32_e32 vcc, v15, v12
	v_cndmask_b32_e32 v5, v5, v15, vcc
	v_lshlrev_b32_e32 v5, 2, v5
	s_waitcnt lgkmcnt(0)
	v_max_f32_e32 v12, v14, v14
	v_max_f32_e32 v12, v13, v12
	ds_bpermute_b32 v13, v5, v12
	v_mov_b32_e32 v14, 0x7f800000
	s_waitcnt lgkmcnt(0)
	v_max_f32_e32 v13, v13, v13
	v_max_f32_e32 v12, v12, v13
	v_pk_add_f32 v[10:11], v[10:11], v[12:13] op_sel_hi:[1,0] neg_lo:[0,1] neg_hi:[0,1]
	v_pk_add_f32 v[8:9], v[8:9], v[12:13] op_sel_hi:[1,0] neg_lo:[0,1] neg_hi:[0,1]
	v_mul_f32_e32 v12, 0x3fb8aa3b, v11
	v_mul_f32_e32 v13, 0x3fb8aa3b, v10
	v_fma_f32 v17, v11, s0, -v12
	v_rndne_f32_e32 v18, v12
	v_mul_f32_e32 v15, 0x3fb8aa3b, v9
	v_fma_f32 v19, v10, s0, -v13
	v_rndne_f32_e32 v20, v13
	v_fmac_f32_e32 v17, 0x32a5705f, v11
	v_sub_f32_e32 v12, v12, v18
	v_mul_f32_e32 v16, 0x3fb8aa3b, v8
	v_fma_f32 v21, v9, s0, -v15
	v_rndne_f32_e32 v22, v15
	v_fmac_f32_e32 v19, 0x32a5705f, v10
	v_sub_f32_e32 v13, v13, v20
	v_add_f32_e32 v12, v12, v17
	v_fma_f32 v23, v8, s0, -v16
	v_rndne_f32_e32 v24, v16
	v_cvt_i32_f32_e32 v18, v18
	v_fmac_f32_e32 v21, 0x32a5705f, v9
	v_sub_f32_e32 v15, v15, v22
	v_add_f32_e32 v13, v13, v19
	v_exp_f32_e32 v12, v12
	v_cvt_i32_f32_e32 v20, v20
	v_fmac_f32_e32 v23, 0x32a5705f, v8
	v_sub_f32_e32 v16, v16, v24
	v_add_f32_e32 v15, v15, v21
	v_exp_f32_e32 v13, v13
	v_cvt_i32_f32_e32 v22, v22
	v_add_f32_e32 v16, v16, v23
	v_exp_f32_e32 v15, v15
	v_cvt_i32_f32_e32 v24, v24
	v_exp_f32_e32 v16, v16
	v_ldexp_f32 v12, v12, v18
	v_cmp_ngt_f32_e32 vcc, s1, v11
	v_ldexp_f32 v13, v13, v20
	v_cndmask_b32_e32 v12, 0, v12, vcc
	v_cmp_ngt_f32_e32 vcc, s1, v10
	v_ldexp_f32 v15, v15, v22
	v_cndmask_b32_e32 v13, 0, v13, vcc
	v_cmp_ngt_f32_e32 vcc, s1, v9
	v_ldexp_f32 v16, v16, v24
	v_cndmask_b32_e32 v15, 0, v15, vcc
	v_cmp_ngt_f32_e32 vcc, s1, v8
	v_cndmask_b32_e32 v16, 0, v16, vcc
	v_cmp_nlt_f32_e32 vcc, s2, v11
	v_cndmask_b32_e32 v11, v14, v12, vcc
	v_cmp_nlt_f32_e32 vcc, s2, v10
	v_cndmask_b32_e32 v10, v14, v13, vcc
	v_cmp_nlt_f32_e32 vcc, s2, v9
	v_cndmask_b32_e32 v9, v14, v15, vcc
	v_cmp_nlt_f32_e32 vcc, s2, v8
	v_cndmask_b32_e32 v8, v14, v16, vcc
	v_add_f32_e32 v12, v8, v9
	v_add_f32_e32 v12, v12, v10
	;; [unrolled: 1-line block ×3, first 2 shown]
	ds_bpermute_b32 v13, v3, v12
	s_load_dwordx4 s[8:11], s[6:7], 0x30
	s_load_dwordx2 s[0:1], s[4:5], 0x4
	s_waitcnt lgkmcnt(0)
	s_mov_b32 s11, 0
	v_add_f32_e32 v12, v12, v13
	ds_bpermute_b32 v13, v4, v12
	s_lshr_b32 s0, s0, 16
	s_mul_i32 s0, s0, s1
	v_mul_lo_u32 v6, s0, v6
	v_mad_u32_u24 v6, v7, s1, v6
	s_waitcnt lgkmcnt(0)
	v_add_f32_e32 v12, v12, v13
	ds_bpermute_b32 v13, v5, v12
	v_add_lshl_u32 v0, v6, v0, 4
	s_cmp_lt_i32 s8, 1
	s_waitcnt lgkmcnt(0)
	v_add_f32_e32 v7, v12, v13
	v_div_scale_f32 v12, s[0:1], v7, v7, 1.0
	v_rcp_f32_e32 v13, v12
	v_div_scale_f32 v6, vcc, 1.0, v7, 1.0
	v_fma_f32 v14, -v12, v13, 1.0
	v_fmac_f32_e32 v13, v14, v13
	v_mul_f32_e32 v14, v6, v13
	v_fma_f32 v15, -v12, v14, v6
	v_fmac_f32_e32 v14, v15, v13
	v_fma_f32 v6, -v12, v14, v6
	v_div_fmas_f32 v6, v6, v13, v14
	v_div_fixup_f32 v12, v6, v7, 1.0
	v_pk_mul_f32 v[6:7], v[12:13], v[8:9] op_sel_hi:[0,1]
	v_pk_mul_f32 v[8:9], v[12:13], v[10:11] op_sel_hi:[0,1]
	ds_write_b128 v0, v[6:9]
	s_cbranch_scc1 .LBB55_23
; %bb.5:
	s_load_dwordx4 s[4:7], s[6:7], 0x20
	v_lshlrev_b32_e32 v6, 2, v2
	v_cmp_eq_u32_e32 vcc, 0, v2
	v_mul_lo_u32 v7, v1, s8
	v_mov_b32_e32 v8, 0xc61c4000
	s_branch .LBB55_7
.LBB55_6:                               ;   in Loop: Header=BB55_7 Depth=1
	s_or_b64 exec, exec, s[0:1]
	s_cmp_lg_u32 s8, s11
	v_add_u32_e32 v1, s20, v1
	s_cbranch_scc0 .LBB55_23
.LBB55_7:                               ; =>This Inner Loop Header: Depth=1
	ds_read_b128 v[10:13], v0
	s_waitcnt lgkmcnt(0)
	v_cmp_gt_f32_e64 s[0:1], v11, v10
	v_cndmask_b32_e64 v9, v10, v11, s[0:1]
	v_cndmask_b32_e64 v10, 0, 1, s[0:1]
	v_cmp_gt_f32_e64 s[0:1], v12, v9
	v_cndmask_b32_e64 v9, v9, v12, s[0:1]
	v_cndmask_b32_e64 v11, v10, 2, s[0:1]
	;; [unrolled: 3-line block ×3, first 2 shown]
	ds_bpermute_b32 v11, v3, v10
	v_or_b32_e32 v9, v6, v9
	ds_bpermute_b32 v12, v3, v9
	s_waitcnt lgkmcnt(1)
	v_cmp_lt_f32_e64 s[16:17], v10, v11
	v_cmp_nlt_f32_e64 s[0:1], v10, v11
	s_and_saveexec_b64 s[18:19], s[0:1]
	s_cbranch_execz .LBB55_9
; %bb.8:                                ;   in Loop: Header=BB55_7 Depth=1
	v_cmp_eq_f32_e64 s[0:1], v10, v11
	s_waitcnt lgkmcnt(0)
	v_cmp_lt_i32_e64 s[2:3], v12, v9
	s_and_b64 s[0:1], s[0:1], s[2:3]
	s_andn2_b64 s[2:3], s[16:17], exec
	s_and_b64 s[0:1], s[0:1], exec
	s_or_b64 s[16:17], s[2:3], s[0:1]
.LBB55_9:                               ;   in Loop: Header=BB55_7 Depth=1
	s_or_b64 exec, exec, s[18:19]
	s_and_saveexec_b64 s[0:1], s[16:17]
	s_cbranch_execz .LBB55_11
; %bb.10:                               ;   in Loop: Header=BB55_7 Depth=1
	v_mov_b32_e32 v10, v11
	s_waitcnt lgkmcnt(0)
	v_mov_b32_e32 v9, v12
.LBB55_11:                              ;   in Loop: Header=BB55_7 Depth=1
	s_or_b64 exec, exec, s[0:1]
	s_waitcnt lgkmcnt(0)
	ds_bpermute_b32 v12, v4, v10
	ds_bpermute_b32 v11, v4, v9
	s_waitcnt lgkmcnt(1)
	v_cmp_lt_f32_e64 s[16:17], v10, v12
	v_cmp_nlt_f32_e64 s[0:1], v10, v12
	s_and_saveexec_b64 s[18:19], s[0:1]
	s_cbranch_execz .LBB55_13
; %bb.12:                               ;   in Loop: Header=BB55_7 Depth=1
	v_cmp_eq_f32_e64 s[0:1], v10, v12
	s_waitcnt lgkmcnt(0)
	v_cmp_lt_i32_e64 s[2:3], v11, v9
	s_and_b64 s[0:1], s[0:1], s[2:3]
	s_andn2_b64 s[2:3], s[16:17], exec
	s_and_b64 s[0:1], s[0:1], exec
	s_or_b64 s[16:17], s[2:3], s[0:1]
.LBB55_13:                              ;   in Loop: Header=BB55_7 Depth=1
	s_or_b64 exec, exec, s[18:19]
	s_and_saveexec_b64 s[0:1], s[16:17]
	s_cbranch_execz .LBB55_15
; %bb.14:                               ;   in Loop: Header=BB55_7 Depth=1
	v_mov_b32_e32 v10, v12
	s_waitcnt lgkmcnt(0)
	v_mov_b32_e32 v9, v11
.LBB55_15:                              ;   in Loop: Header=BB55_7 Depth=1
	s_or_b64 exec, exec, s[0:1]
	s_waitcnt lgkmcnt(0)
	ds_bpermute_b32 v11, v5, v10
	ds_bpermute_b32 v12, v5, v9
	s_waitcnt lgkmcnt(1)
	v_cmp_lt_f32_e64 s[16:17], v10, v11
	v_cmp_nlt_f32_e64 s[0:1], v10, v11
	s_and_saveexec_b64 s[18:19], s[0:1]
	s_cbranch_execnz .LBB55_21
; %bb.16:                               ;   in Loop: Header=BB55_7 Depth=1
	s_or_b64 exec, exec, s[18:19]
	s_and_saveexec_b64 s[0:1], s[16:17]
	s_cbranch_execnz .LBB55_22
.LBB55_17:                              ;   in Loop: Header=BB55_7 Depth=1
	s_or_b64 exec, exec, s[0:1]
	s_and_saveexec_b64 s[16:17], vcc
	s_cbranch_execz .LBB55_19
.LBB55_18:                              ;   in Loop: Header=BB55_7 Depth=1
	s_waitcnt lgkmcnt(0)
	v_add_u32_e32 v12, s11, v7
	v_ashrrev_i32_e32 v13, 31, v12
	v_cmp_le_i32_e64 s[0:1], s9, v9
	v_cmp_gt_i32_e64 s[2:3], s10, v9
	v_lshlrev_b64 v[14:15], 2, v[12:13]
	s_and_b64 s[2:3], s[0:1], s[2:3]
	v_mov_b32_e32 v11, s13
	v_add_co_u32_e64 v16, s[0:1], s12, v14
	v_addc_co_u32_e64 v17, s[0:1], v11, v15, s[0:1]
	global_store_dword v[16:17], v10, off
	v_subrev_u32_e32 v10, s9, v9
	v_ashrrev_i32_e32 v11, 31, v10
	s_and_b64 s[0:1], s[14:15], s[2:3]
	v_lshlrev_b64 v[12:13], 3, v[12:13]
	v_cndmask_b32_e64 v11, 0, v11, s[0:1]
	v_cndmask_b32_e64 v10, 32, v10, s[0:1]
	v_mov_b32_e32 v16, s5
	v_add_co_u32_e64 v12, s[0:1], s4, v12
	v_addc_co_u32_e64 v13, s[0:1], v16, v13, s[0:1]
	global_store_dwordx2 v[12:13], v[10:11], off
	v_mov_b32_e32 v11, s7
	v_add_co_u32_e64 v10, s[0:1], s6, v14
	v_addc_co_u32_e64 v11, s[0:1], v11, v15, s[0:1]
	global_store_dword v[10:11], v1, off
.LBB55_19:                              ;   in Loop: Header=BB55_7 Depth=1
	s_or_b64 exec, exec, s[16:17]
	v_ashrrev_i32_e32 v11, 31, v9
	v_lshrrev_b32_e32 v10, 30, v11
	v_add_u32_e32 v10, v9, v10
	v_ashrrev_i32_e32 v10, 2, v10
	s_waitcnt lgkmcnt(0)
	v_lshrrev_b32_e32 v12, 29, v10
	v_add_u32_e32 v12, v10, v12
	s_add_i32 s11, s11, 1
	v_and_b32_e32 v12, -8, v12
	s_cmp_lt_i32 s11, s8
	v_sub_u32_e32 v12, v10, v12
	s_cselect_b64 s[2:3], -1, 0
	v_cmp_eq_u32_e64 s[0:1], v2, v12
	s_and_b64 s[2:3], s[2:3], s[0:1]
	s_and_saveexec_b64 s[0:1], s[2:3]
	s_cbranch_execz .LBB55_6
; %bb.20:                               ;   in Loop: Header=BB55_7 Depth=1
	v_lshrrev_b32_e32 v11, 27, v11
	v_add_u32_e32 v11, v9, v11
	v_lshlrev_b32_e32 v10, 2, v10
	v_ashrrev_i32_e32 v11, 5, v11
	v_sub_u32_e32 v9, v9, v10
	v_lshl_add_u32 v9, v11, 2, v9
	v_lshl_add_u32 v9, v9, 2, v0
	ds_write_b32 v9, v8
	s_branch .LBB55_6
.LBB55_21:                              ;   in Loop: Header=BB55_7 Depth=1
	v_cmp_eq_f32_e64 s[0:1], v10, v11
	s_waitcnt lgkmcnt(0)
	v_cmp_lt_i32_e64 s[2:3], v12, v9
	s_and_b64 s[0:1], s[0:1], s[2:3]
	s_andn2_b64 s[2:3], s[16:17], exec
	s_and_b64 s[0:1], s[0:1], exec
	s_or_b64 s[16:17], s[2:3], s[0:1]
	s_or_b64 exec, exec, s[18:19]
	s_and_saveexec_b64 s[0:1], s[16:17]
	s_cbranch_execz .LBB55_17
.LBB55_22:                              ;   in Loop: Header=BB55_7 Depth=1
	v_mov_b32_e32 v10, v11
	s_waitcnt lgkmcnt(0)
	v_mov_b32_e32 v9, v12
	s_or_b64 exec, exec, s[0:1]
	s_and_saveexec_b64 s[16:17], vcc
	s_cbranch_execnz .LBB55_18
	s_branch .LBB55_19
.LBB55_23:
	s_endpgm
	.section	.rodata,"a",@progbits
	.p2align	6, 0x0
	.amdhsa_kernel _ZN4vllm3moe17topkGatingSoftmaxILi4ELi32ELi4ELi16ELi64ElEEvPKfPKbPfiPT4_Piiii
		.amdhsa_group_segment_fixed_size 4096
		.amdhsa_private_segment_fixed_size 0
		.amdhsa_kernarg_size 60
		.amdhsa_user_sgpr_count 8
		.amdhsa_user_sgpr_private_segment_buffer 1
		.amdhsa_user_sgpr_dispatch_ptr 1
		.amdhsa_user_sgpr_queue_ptr 0
		.amdhsa_user_sgpr_kernarg_segment_ptr 1
		.amdhsa_user_sgpr_dispatch_id 0
		.amdhsa_user_sgpr_flat_scratch_init 0
		.amdhsa_user_sgpr_kernarg_preload_length 0
		.amdhsa_user_sgpr_kernarg_preload_offset 0
		.amdhsa_user_sgpr_private_segment_size 0
		.amdhsa_uses_dynamic_stack 0
		.amdhsa_system_sgpr_private_segment_wavefront_offset 0
		.amdhsa_system_sgpr_workgroup_id_x 1
		.amdhsa_system_sgpr_workgroup_id_y 0
		.amdhsa_system_sgpr_workgroup_id_z 0
		.amdhsa_system_sgpr_workgroup_info 0
		.amdhsa_system_vgpr_workitem_id 2
		.amdhsa_next_free_vgpr 25
		.amdhsa_next_free_sgpr 21
		.amdhsa_accum_offset 28
		.amdhsa_reserve_vcc 1
		.amdhsa_reserve_flat_scratch 0
		.amdhsa_float_round_mode_32 0
		.amdhsa_float_round_mode_16_64 0
		.amdhsa_float_denorm_mode_32 3
		.amdhsa_float_denorm_mode_16_64 3
		.amdhsa_dx10_clamp 1
		.amdhsa_ieee_mode 1
		.amdhsa_fp16_overflow 0
		.amdhsa_tg_split 0
		.amdhsa_exception_fp_ieee_invalid_op 0
		.amdhsa_exception_fp_denorm_src 0
		.amdhsa_exception_fp_ieee_div_zero 0
		.amdhsa_exception_fp_ieee_overflow 0
		.amdhsa_exception_fp_ieee_underflow 0
		.amdhsa_exception_fp_ieee_inexact 0
		.amdhsa_exception_int_div_zero 0
	.end_amdhsa_kernel
	.section	.text._ZN4vllm3moe17topkGatingSoftmaxILi4ELi32ELi4ELi16ELi64ElEEvPKfPKbPfiPT4_Piiii,"axG",@progbits,_ZN4vllm3moe17topkGatingSoftmaxILi4ELi32ELi4ELi16ELi64ElEEvPKfPKbPfiPT4_Piiii,comdat
.Lfunc_end55:
	.size	_ZN4vllm3moe17topkGatingSoftmaxILi4ELi32ELi4ELi16ELi64ElEEvPKfPKbPfiPT4_Piiii, .Lfunc_end55-_ZN4vllm3moe17topkGatingSoftmaxILi4ELi32ELi4ELi16ELi64ElEEvPKfPKbPfiPT4_Piiii
                                        ; -- End function
	.section	.AMDGPU.csdata,"",@progbits
; Kernel info:
; codeLenInByte = 1688
; NumSgprs: 25
; NumVgprs: 25
; NumAgprs: 0
; TotalNumVgprs: 25
; ScratchSize: 0
; MemoryBound: 0
; FloatMode: 240
; IeeeMode: 1
; LDSByteSize: 4096 bytes/workgroup (compile time only)
; SGPRBlocks: 3
; VGPRBlocks: 3
; NumSGPRsForWavesPerEU: 25
; NumVGPRsForWavesPerEU: 25
; AccumOffset: 28
; Occupancy: 8
; WaveLimiterHint : 0
; COMPUTE_PGM_RSRC2:SCRATCH_EN: 0
; COMPUTE_PGM_RSRC2:USER_SGPR: 8
; COMPUTE_PGM_RSRC2:TRAP_HANDLER: 0
; COMPUTE_PGM_RSRC2:TGID_X_EN: 1
; COMPUTE_PGM_RSRC2:TGID_Y_EN: 0
; COMPUTE_PGM_RSRC2:TGID_Z_EN: 0
; COMPUTE_PGM_RSRC2:TIDIG_COMP_CNT: 2
; COMPUTE_PGM_RSRC3_GFX90A:ACCUM_OFFSET: 6
; COMPUTE_PGM_RSRC3_GFX90A:TG_SPLIT: 0
	.section	.text._ZN4vllm3moe17topkGatingSoftmaxILi4ELi32ELi4ELi16ELi32ElEEvPKfPKbPfiPT4_Piiii,"axG",@progbits,_ZN4vllm3moe17topkGatingSoftmaxILi4ELi32ELi4ELi16ELi32ElEEvPKfPKbPfiPT4_Piiii,comdat
	.protected	_ZN4vllm3moe17topkGatingSoftmaxILi4ELi32ELi4ELi16ELi32ElEEvPKfPKbPfiPT4_Piiii ; -- Begin function _ZN4vllm3moe17topkGatingSoftmaxILi4ELi32ELi4ELi16ELi32ElEEvPKfPKbPfiPT4_Piiii
	.globl	_ZN4vllm3moe17topkGatingSoftmaxILi4ELi32ELi4ELi16ELi32ElEEvPKfPKbPfiPT4_Piiii
	.p2align	8
	.type	_ZN4vllm3moe17topkGatingSoftmaxILi4ELi32ELi4ELi16ELi32ElEEvPKfPKbPfiPT4_Piiii,@function
_ZN4vllm3moe17topkGatingSoftmaxILi4ELi32ELi4ELi16ELi32ElEEvPKfPKbPfiPT4_Piiii: ; @_ZN4vllm3moe17topkGatingSoftmaxILi4ELi32ELi4ELi16ELi32ElEEvPKfPKbPfiPT4_Piiii
; %bb.0:
	s_load_dword s20, s[6:7], 0x18
	v_and_b32_e32 v6, 0x3ff, v0
	v_bfe_u32 v7, v0, 10, 10
	s_lshl_b32 s0, s8, 4
	v_lshlrev_b32_e32 v1, 2, v7
	v_lshrrev_b32_e32 v2, 3, v6
	v_add3_u32 v1, s0, v1, v2
	s_waitcnt lgkmcnt(0)
	v_cmp_gt_i32_e32 vcc, s20, v1
	s_and_saveexec_b64 s[0:1], vcc
	s_cbranch_execz .LBB56_23
; %bb.1:
	s_load_dwordx4 s[0:3], s[6:7], 0x0
	s_load_dwordx2 s[12:13], s[6:7], 0x10
	s_waitcnt lgkmcnt(0)
	s_cmp_eq_u64 s[2:3], 0
	s_cbranch_scc1 .LBB56_3
; %bb.2:
	v_ashrrev_i32_e32 v3, 31, v1
	v_mov_b32_e32 v4, s3
	v_add_co_u32_e32 v2, vcc, s2, v1
	v_addc_co_u32_e32 v3, vcc, v4, v3, vcc
	global_load_ubyte v2, v[2:3], off
	s_waitcnt vmcnt(0)
	v_and_b32_e32 v2, 1, v2
	v_cmp_eq_u32_e32 vcc, 1, v2
	s_xor_b64 s[2:3], vcc, -1
	s_orn2_b64 s[14:15], s[2:3], exec
	s_branch .LBB56_4
.LBB56_3:
	s_mov_b64 s[14:15], -1
.LBB56_4:
	v_lshlrev_b32_e32 v2, 5, v1
	v_ashrrev_i32_e32 v3, 31, v2
	v_lshlrev_b64 v[2:3], 2, v[2:3]
	v_mov_b32_e32 v4, s1
	v_add_co_u32_e32 v5, vcc, s0, v2
	v_and_b32_e32 v2, 7, v6
	v_addc_co_u32_e32 v3, vcc, v4, v3, vcc
	v_lshlrev_b32_e32 v4, 4, v2
	v_add_co_u32_e32 v4, vcc, v5, v4
	v_addc_co_u32_e32 v5, vcc, 0, v3, vcc
	global_load_dwordx4 v[8:11], v[4:5], off
	v_mbcnt_lo_u32_b32 v3, -1, 0
	v_mbcnt_hi_u32_b32 v5, -1, v3
	v_and_b32_e32 v3, 0x78, v5
	v_xor_b32_e32 v4, 4, v5
	v_add_u32_e32 v12, 8, v3
	v_cmp_lt_i32_e32 vcc, v4, v12
	v_cndmask_b32_e32 v3, v5, v4, vcc
	v_lshlrev_b32_e32 v3, 2, v3
	v_xor_b32_e32 v15, 1, v5
	s_mov_b32 s0, 0x3fb8aa3b
	s_mov_b32 s1, 0xc2ce8ed0
	s_mov_b32 s2, 0x42b17218
	v_bfe_u32 v0, v0, 20, 10
	s_waitcnt vmcnt(0)
	v_max_f32_e32 v4, v9, v9
	v_max_f32_e32 v13, v8, v8
	;; [unrolled: 1-line block ×3, first 2 shown]
	v_max3_f32 v13, v4, v10, v11
	ds_bpermute_b32 v14, v3, v13
	v_xor_b32_e32 v4, 2, v5
	v_cmp_lt_i32_e32 vcc, v4, v12
	v_cndmask_b32_e32 v4, v5, v4, vcc
	v_lshlrev_b32_e32 v4, 2, v4
	s_waitcnt lgkmcnt(0)
	v_max_f32_e32 v14, v14, v14
	v_max_f32_e32 v13, v13, v14
	ds_bpermute_b32 v14, v4, v13
	v_cmp_lt_i32_e32 vcc, v15, v12
	v_cndmask_b32_e32 v5, v5, v15, vcc
	v_lshlrev_b32_e32 v5, 2, v5
	s_waitcnt lgkmcnt(0)
	v_max_f32_e32 v12, v14, v14
	v_max_f32_e32 v12, v13, v12
	ds_bpermute_b32 v13, v5, v12
	v_mov_b32_e32 v14, 0x7f800000
	s_waitcnt lgkmcnt(0)
	v_max_f32_e32 v13, v13, v13
	v_max_f32_e32 v12, v12, v13
	v_pk_add_f32 v[10:11], v[10:11], v[12:13] op_sel_hi:[1,0] neg_lo:[0,1] neg_hi:[0,1]
	v_pk_add_f32 v[8:9], v[8:9], v[12:13] op_sel_hi:[1,0] neg_lo:[0,1] neg_hi:[0,1]
	v_mul_f32_e32 v12, 0x3fb8aa3b, v11
	v_mul_f32_e32 v13, 0x3fb8aa3b, v10
	v_fma_f32 v17, v11, s0, -v12
	v_rndne_f32_e32 v18, v12
	v_mul_f32_e32 v15, 0x3fb8aa3b, v9
	v_fma_f32 v19, v10, s0, -v13
	v_rndne_f32_e32 v20, v13
	v_fmac_f32_e32 v17, 0x32a5705f, v11
	v_sub_f32_e32 v12, v12, v18
	v_mul_f32_e32 v16, 0x3fb8aa3b, v8
	v_fma_f32 v21, v9, s0, -v15
	v_rndne_f32_e32 v22, v15
	v_fmac_f32_e32 v19, 0x32a5705f, v10
	v_sub_f32_e32 v13, v13, v20
	v_add_f32_e32 v12, v12, v17
	v_fma_f32 v23, v8, s0, -v16
	v_rndne_f32_e32 v24, v16
	v_cvt_i32_f32_e32 v18, v18
	v_fmac_f32_e32 v21, 0x32a5705f, v9
	v_sub_f32_e32 v15, v15, v22
	v_add_f32_e32 v13, v13, v19
	v_exp_f32_e32 v12, v12
	v_cvt_i32_f32_e32 v20, v20
	v_fmac_f32_e32 v23, 0x32a5705f, v8
	v_sub_f32_e32 v16, v16, v24
	v_add_f32_e32 v15, v15, v21
	v_exp_f32_e32 v13, v13
	v_cvt_i32_f32_e32 v22, v22
	v_add_f32_e32 v16, v16, v23
	v_exp_f32_e32 v15, v15
	v_cvt_i32_f32_e32 v24, v24
	v_exp_f32_e32 v16, v16
	v_ldexp_f32 v12, v12, v18
	v_cmp_ngt_f32_e32 vcc, s1, v11
	v_ldexp_f32 v13, v13, v20
	v_cndmask_b32_e32 v12, 0, v12, vcc
	v_cmp_ngt_f32_e32 vcc, s1, v10
	v_ldexp_f32 v15, v15, v22
	v_cndmask_b32_e32 v13, 0, v13, vcc
	;; [unrolled: 3-line block ×3, first 2 shown]
	v_cmp_ngt_f32_e32 vcc, s1, v8
	v_cndmask_b32_e32 v16, 0, v16, vcc
	v_cmp_nlt_f32_e32 vcc, s2, v11
	v_cndmask_b32_e32 v11, v14, v12, vcc
	v_cmp_nlt_f32_e32 vcc, s2, v10
	;; [unrolled: 2-line block ×4, first 2 shown]
	v_cndmask_b32_e32 v8, v14, v16, vcc
	v_add_f32_e32 v12, v8, v9
	v_add_f32_e32 v12, v12, v10
	;; [unrolled: 1-line block ×3, first 2 shown]
	ds_bpermute_b32 v13, v3, v12
	s_load_dwordx4 s[8:11], s[6:7], 0x30
	s_load_dwordx2 s[0:1], s[4:5], 0x4
	s_waitcnt lgkmcnt(0)
	s_mov_b32 s11, 0
	v_add_f32_e32 v12, v12, v13
	ds_bpermute_b32 v13, v4, v12
	s_lshr_b32 s0, s0, 16
	v_mul_u32_u24_e32 v7, s1, v7
	s_mul_i32 s0, s0, s1
	v_mad_u32_u24 v6, s0, v6, v7
	s_waitcnt lgkmcnt(0)
	v_add_f32_e32 v12, v12, v13
	ds_bpermute_b32 v13, v5, v12
	v_add_lshl_u32 v0, v6, v0, 4
	s_cmp_lt_i32 s8, 1
	s_waitcnt lgkmcnt(0)
	v_add_f32_e32 v7, v12, v13
	v_div_scale_f32 v12, s[0:1], v7, v7, 1.0
	v_rcp_f32_e32 v13, v12
	v_div_scale_f32 v6, vcc, 1.0, v7, 1.0
	v_fma_f32 v14, -v12, v13, 1.0
	v_fmac_f32_e32 v13, v14, v13
	v_mul_f32_e32 v14, v6, v13
	v_fma_f32 v15, -v12, v14, v6
	v_fmac_f32_e32 v14, v15, v13
	v_fma_f32 v6, -v12, v14, v6
	v_div_fmas_f32 v6, v6, v13, v14
	v_div_fixup_f32 v12, v6, v7, 1.0
	v_pk_mul_f32 v[6:7], v[12:13], v[8:9] op_sel_hi:[0,1]
	v_pk_mul_f32 v[8:9], v[12:13], v[10:11] op_sel_hi:[0,1]
	ds_write_b128 v0, v[6:9]
	s_cbranch_scc1 .LBB56_23
; %bb.5:
	s_load_dwordx4 s[4:7], s[6:7], 0x20
	v_lshlrev_b32_e32 v6, 2, v2
	v_cmp_eq_u32_e32 vcc, 0, v2
	v_mul_lo_u32 v7, v1, s8
	v_mov_b32_e32 v8, 0xc61c4000
	s_branch .LBB56_7
.LBB56_6:                               ;   in Loop: Header=BB56_7 Depth=1
	s_or_b64 exec, exec, s[0:1]
	s_cmp_lg_u32 s8, s11
	v_add_u32_e32 v1, s20, v1
	s_cbranch_scc0 .LBB56_23
.LBB56_7:                               ; =>This Inner Loop Header: Depth=1
	ds_read_b128 v[10:13], v0
	s_waitcnt lgkmcnt(0)
	v_cmp_gt_f32_e64 s[0:1], v11, v10
	v_cndmask_b32_e64 v9, v10, v11, s[0:1]
	v_cndmask_b32_e64 v10, 0, 1, s[0:1]
	v_cmp_gt_f32_e64 s[0:1], v12, v9
	v_cndmask_b32_e64 v9, v9, v12, s[0:1]
	v_cndmask_b32_e64 v11, v10, 2, s[0:1]
	;; [unrolled: 3-line block ×3, first 2 shown]
	ds_bpermute_b32 v11, v3, v10
	v_or_b32_e32 v9, v6, v9
	ds_bpermute_b32 v12, v3, v9
	s_waitcnt lgkmcnt(1)
	v_cmp_lt_f32_e64 s[16:17], v10, v11
	v_cmp_nlt_f32_e64 s[0:1], v10, v11
	s_and_saveexec_b64 s[18:19], s[0:1]
	s_cbranch_execz .LBB56_9
; %bb.8:                                ;   in Loop: Header=BB56_7 Depth=1
	v_cmp_eq_f32_e64 s[0:1], v10, v11
	s_waitcnt lgkmcnt(0)
	v_cmp_lt_i32_e64 s[2:3], v12, v9
	s_and_b64 s[0:1], s[0:1], s[2:3]
	s_andn2_b64 s[2:3], s[16:17], exec
	s_and_b64 s[0:1], s[0:1], exec
	s_or_b64 s[16:17], s[2:3], s[0:1]
.LBB56_9:                               ;   in Loop: Header=BB56_7 Depth=1
	s_or_b64 exec, exec, s[18:19]
	s_and_saveexec_b64 s[0:1], s[16:17]
	s_cbranch_execz .LBB56_11
; %bb.10:                               ;   in Loop: Header=BB56_7 Depth=1
	v_mov_b32_e32 v10, v11
	s_waitcnt lgkmcnt(0)
	v_mov_b32_e32 v9, v12
.LBB56_11:                              ;   in Loop: Header=BB56_7 Depth=1
	s_or_b64 exec, exec, s[0:1]
	s_waitcnt lgkmcnt(0)
	ds_bpermute_b32 v12, v4, v10
	ds_bpermute_b32 v11, v4, v9
	s_waitcnt lgkmcnt(1)
	v_cmp_lt_f32_e64 s[16:17], v10, v12
	v_cmp_nlt_f32_e64 s[0:1], v10, v12
	s_and_saveexec_b64 s[18:19], s[0:1]
	s_cbranch_execz .LBB56_13
; %bb.12:                               ;   in Loop: Header=BB56_7 Depth=1
	v_cmp_eq_f32_e64 s[0:1], v10, v12
	s_waitcnt lgkmcnt(0)
	v_cmp_lt_i32_e64 s[2:3], v11, v9
	s_and_b64 s[0:1], s[0:1], s[2:3]
	s_andn2_b64 s[2:3], s[16:17], exec
	s_and_b64 s[0:1], s[0:1], exec
	s_or_b64 s[16:17], s[2:3], s[0:1]
.LBB56_13:                              ;   in Loop: Header=BB56_7 Depth=1
	s_or_b64 exec, exec, s[18:19]
	s_and_saveexec_b64 s[0:1], s[16:17]
	s_cbranch_execz .LBB56_15
; %bb.14:                               ;   in Loop: Header=BB56_7 Depth=1
	v_mov_b32_e32 v10, v12
	s_waitcnt lgkmcnt(0)
	v_mov_b32_e32 v9, v11
.LBB56_15:                              ;   in Loop: Header=BB56_7 Depth=1
	s_or_b64 exec, exec, s[0:1]
	s_waitcnt lgkmcnt(0)
	ds_bpermute_b32 v11, v5, v10
	ds_bpermute_b32 v12, v5, v9
	s_waitcnt lgkmcnt(1)
	v_cmp_lt_f32_e64 s[16:17], v10, v11
	v_cmp_nlt_f32_e64 s[0:1], v10, v11
	s_and_saveexec_b64 s[18:19], s[0:1]
	s_cbranch_execnz .LBB56_21
; %bb.16:                               ;   in Loop: Header=BB56_7 Depth=1
	s_or_b64 exec, exec, s[18:19]
	s_and_saveexec_b64 s[0:1], s[16:17]
	s_cbranch_execnz .LBB56_22
.LBB56_17:                              ;   in Loop: Header=BB56_7 Depth=1
	s_or_b64 exec, exec, s[0:1]
	s_and_saveexec_b64 s[16:17], vcc
	s_cbranch_execz .LBB56_19
.LBB56_18:                              ;   in Loop: Header=BB56_7 Depth=1
	s_waitcnt lgkmcnt(0)
	v_add_u32_e32 v12, s11, v7
	v_ashrrev_i32_e32 v13, 31, v12
	v_cmp_le_i32_e64 s[0:1], s9, v9
	v_cmp_gt_i32_e64 s[2:3], s10, v9
	v_lshlrev_b64 v[14:15], 2, v[12:13]
	s_and_b64 s[2:3], s[0:1], s[2:3]
	v_mov_b32_e32 v11, s13
	v_add_co_u32_e64 v16, s[0:1], s12, v14
	v_addc_co_u32_e64 v17, s[0:1], v11, v15, s[0:1]
	global_store_dword v[16:17], v10, off
	v_subrev_u32_e32 v10, s9, v9
	v_ashrrev_i32_e32 v11, 31, v10
	s_and_b64 s[0:1], s[14:15], s[2:3]
	v_lshlrev_b64 v[12:13], 3, v[12:13]
	v_cndmask_b32_e64 v11, 0, v11, s[0:1]
	v_cndmask_b32_e64 v10, 32, v10, s[0:1]
	v_mov_b32_e32 v16, s5
	v_add_co_u32_e64 v12, s[0:1], s4, v12
	v_addc_co_u32_e64 v13, s[0:1], v16, v13, s[0:1]
	global_store_dwordx2 v[12:13], v[10:11], off
	v_mov_b32_e32 v11, s7
	v_add_co_u32_e64 v10, s[0:1], s6, v14
	v_addc_co_u32_e64 v11, s[0:1], v11, v15, s[0:1]
	global_store_dword v[10:11], v1, off
.LBB56_19:                              ;   in Loop: Header=BB56_7 Depth=1
	s_or_b64 exec, exec, s[16:17]
	v_ashrrev_i32_e32 v11, 31, v9
	v_lshrrev_b32_e32 v10, 30, v11
	v_add_u32_e32 v10, v9, v10
	v_ashrrev_i32_e32 v10, 2, v10
	s_waitcnt lgkmcnt(0)
	v_lshrrev_b32_e32 v12, 29, v10
	v_add_u32_e32 v12, v10, v12
	s_add_i32 s11, s11, 1
	v_and_b32_e32 v12, -8, v12
	s_cmp_lt_i32 s11, s8
	v_sub_u32_e32 v12, v10, v12
	s_cselect_b64 s[2:3], -1, 0
	v_cmp_eq_u32_e64 s[0:1], v2, v12
	s_and_b64 s[2:3], s[2:3], s[0:1]
	s_and_saveexec_b64 s[0:1], s[2:3]
	s_cbranch_execz .LBB56_6
; %bb.20:                               ;   in Loop: Header=BB56_7 Depth=1
	v_lshrrev_b32_e32 v11, 27, v11
	v_add_u32_e32 v11, v9, v11
	v_lshlrev_b32_e32 v10, 2, v10
	v_ashrrev_i32_e32 v11, 5, v11
	v_sub_u32_e32 v9, v9, v10
	v_lshl_add_u32 v9, v11, 2, v9
	v_lshl_add_u32 v9, v9, 2, v0
	ds_write_b32 v9, v8
	s_branch .LBB56_6
.LBB56_21:                              ;   in Loop: Header=BB56_7 Depth=1
	v_cmp_eq_f32_e64 s[0:1], v10, v11
	s_waitcnt lgkmcnt(0)
	v_cmp_lt_i32_e64 s[2:3], v12, v9
	s_and_b64 s[0:1], s[0:1], s[2:3]
	s_andn2_b64 s[2:3], s[16:17], exec
	s_and_b64 s[0:1], s[0:1], exec
	s_or_b64 s[16:17], s[2:3], s[0:1]
	s_or_b64 exec, exec, s[18:19]
	s_and_saveexec_b64 s[0:1], s[16:17]
	s_cbranch_execz .LBB56_17
.LBB56_22:                              ;   in Loop: Header=BB56_7 Depth=1
	v_mov_b32_e32 v10, v11
	s_waitcnt lgkmcnt(0)
	v_mov_b32_e32 v9, v12
	s_or_b64 exec, exec, s[0:1]
	s_and_saveexec_b64 s[16:17], vcc
	s_cbranch_execnz .LBB56_18
	s_branch .LBB56_19
.LBB56_23:
	s_endpgm
	.section	.rodata,"a",@progbits
	.p2align	6, 0x0
	.amdhsa_kernel _ZN4vllm3moe17topkGatingSoftmaxILi4ELi32ELi4ELi16ELi32ElEEvPKfPKbPfiPT4_Piiii
		.amdhsa_group_segment_fixed_size 2048
		.amdhsa_private_segment_fixed_size 0
		.amdhsa_kernarg_size 60
		.amdhsa_user_sgpr_count 8
		.amdhsa_user_sgpr_private_segment_buffer 1
		.amdhsa_user_sgpr_dispatch_ptr 1
		.amdhsa_user_sgpr_queue_ptr 0
		.amdhsa_user_sgpr_kernarg_segment_ptr 1
		.amdhsa_user_sgpr_dispatch_id 0
		.amdhsa_user_sgpr_flat_scratch_init 0
		.amdhsa_user_sgpr_kernarg_preload_length 0
		.amdhsa_user_sgpr_kernarg_preload_offset 0
		.amdhsa_user_sgpr_private_segment_size 0
		.amdhsa_uses_dynamic_stack 0
		.amdhsa_system_sgpr_private_segment_wavefront_offset 0
		.amdhsa_system_sgpr_workgroup_id_x 1
		.amdhsa_system_sgpr_workgroup_id_y 0
		.amdhsa_system_sgpr_workgroup_id_z 0
		.amdhsa_system_sgpr_workgroup_info 0
		.amdhsa_system_vgpr_workitem_id 2
		.amdhsa_next_free_vgpr 25
		.amdhsa_next_free_sgpr 21
		.amdhsa_accum_offset 28
		.amdhsa_reserve_vcc 1
		.amdhsa_reserve_flat_scratch 0
		.amdhsa_float_round_mode_32 0
		.amdhsa_float_round_mode_16_64 0
		.amdhsa_float_denorm_mode_32 3
		.amdhsa_float_denorm_mode_16_64 3
		.amdhsa_dx10_clamp 1
		.amdhsa_ieee_mode 1
		.amdhsa_fp16_overflow 0
		.amdhsa_tg_split 0
		.amdhsa_exception_fp_ieee_invalid_op 0
		.amdhsa_exception_fp_denorm_src 0
		.amdhsa_exception_fp_ieee_div_zero 0
		.amdhsa_exception_fp_ieee_overflow 0
		.amdhsa_exception_fp_ieee_underflow 0
		.amdhsa_exception_fp_ieee_inexact 0
		.amdhsa_exception_int_div_zero 0
	.end_amdhsa_kernel
	.section	.text._ZN4vllm3moe17topkGatingSoftmaxILi4ELi32ELi4ELi16ELi32ElEEvPKfPKbPfiPT4_Piiii,"axG",@progbits,_ZN4vllm3moe17topkGatingSoftmaxILi4ELi32ELi4ELi16ELi32ElEEvPKfPKbPfiPT4_Piiii,comdat
.Lfunc_end56:
	.size	_ZN4vllm3moe17topkGatingSoftmaxILi4ELi32ELi4ELi16ELi32ElEEvPKfPKbPfiPT4_Piiii, .Lfunc_end56-_ZN4vllm3moe17topkGatingSoftmaxILi4ELi32ELi4ELi16ELi32ElEEvPKfPKbPfiPT4_Piiii
                                        ; -- End function
	.section	.AMDGPU.csdata,"",@progbits
; Kernel info:
; codeLenInByte = 1684
; NumSgprs: 25
; NumVgprs: 25
; NumAgprs: 0
; TotalNumVgprs: 25
; ScratchSize: 0
; MemoryBound: 0
; FloatMode: 240
; IeeeMode: 1
; LDSByteSize: 2048 bytes/workgroup (compile time only)
; SGPRBlocks: 3
; VGPRBlocks: 3
; NumSGPRsForWavesPerEU: 25
; NumVGPRsForWavesPerEU: 25
; AccumOffset: 28
; Occupancy: 8
; WaveLimiterHint : 0
; COMPUTE_PGM_RSRC2:SCRATCH_EN: 0
; COMPUTE_PGM_RSRC2:USER_SGPR: 8
; COMPUTE_PGM_RSRC2:TRAP_HANDLER: 0
; COMPUTE_PGM_RSRC2:TGID_X_EN: 1
; COMPUTE_PGM_RSRC2:TGID_Y_EN: 0
; COMPUTE_PGM_RSRC2:TGID_Z_EN: 0
; COMPUTE_PGM_RSRC2:TIDIG_COMP_CNT: 2
; COMPUTE_PGM_RSRC3_GFX90A:ACCUM_OFFSET: 6
; COMPUTE_PGM_RSRC3_GFX90A:TG_SPLIT: 0
	.section	.text._ZN4vllm3moe17topkGatingSoftmaxILi4ELi64ELi4ELi16ELi64ElEEvPKfPKbPfiPT4_Piiii,"axG",@progbits,_ZN4vllm3moe17topkGatingSoftmaxILi4ELi64ELi4ELi16ELi64ElEEvPKfPKbPfiPT4_Piiii,comdat
	.protected	_ZN4vllm3moe17topkGatingSoftmaxILi4ELi64ELi4ELi16ELi64ElEEvPKfPKbPfiPT4_Piiii ; -- Begin function _ZN4vllm3moe17topkGatingSoftmaxILi4ELi64ELi4ELi16ELi64ElEEvPKfPKbPfiPT4_Piiii
	.globl	_ZN4vllm3moe17topkGatingSoftmaxILi4ELi64ELi4ELi16ELi64ElEEvPKfPKbPfiPT4_Piiii
	.p2align	8
	.type	_ZN4vllm3moe17topkGatingSoftmaxILi4ELi64ELi4ELi16ELi64ElEEvPKfPKbPfiPT4_Piiii,@function
_ZN4vllm3moe17topkGatingSoftmaxILi4ELi64ELi4ELi16ELi64ElEEvPKfPKbPfiPT4_Piiii: ; @_ZN4vllm3moe17topkGatingSoftmaxILi4ELi64ELi4ELi16ELi64ElEEvPKfPKbPfiPT4_Piiii
; %bb.0:
	s_load_dword s20, s[6:7], 0x18
	v_and_b32_e32 v7, 0x3ff, v0
	v_bfe_u32 v8, v0, 10, 10
	s_lshl_b32 s0, s8, 4
	v_lshlrev_b32_e32 v1, 2, v8
	v_lshrrev_b32_e32 v2, 4, v7
	v_add3_u32 v1, s0, v1, v2
	s_waitcnt lgkmcnt(0)
	v_cmp_gt_i32_e32 vcc, s20, v1
	s_and_saveexec_b64 s[0:1], vcc
	s_cbranch_execz .LBB57_27
; %bb.1:
	s_load_dwordx4 s[0:3], s[6:7], 0x0
	s_load_dwordx2 s[12:13], s[6:7], 0x10
	s_waitcnt lgkmcnt(0)
	s_cmp_eq_u64 s[2:3], 0
	s_cbranch_scc1 .LBB57_3
; %bb.2:
	v_ashrrev_i32_e32 v3, 31, v1
	v_mov_b32_e32 v4, s3
	v_add_co_u32_e32 v2, vcc, s2, v1
	v_addc_co_u32_e32 v3, vcc, v4, v3, vcc
	global_load_ubyte v2, v[2:3], off
	s_waitcnt vmcnt(0)
	v_and_b32_e32 v2, 1, v2
	v_cmp_eq_u32_e32 vcc, 1, v2
	s_xor_b64 s[2:3], vcc, -1
	s_orn2_b64 s[14:15], s[2:3], exec
	s_branch .LBB57_4
.LBB57_3:
	s_mov_b64 s[14:15], -1
.LBB57_4:
	v_lshlrev_b32_e32 v2, 6, v1
	v_ashrrev_i32_e32 v3, 31, v2
	v_lshlrev_b64 v[2:3], 2, v[2:3]
	v_mov_b32_e32 v4, s1
	v_add_co_u32_e32 v5, vcc, s0, v2
	v_and_b32_e32 v2, 15, v7
	v_addc_co_u32_e32 v3, vcc, v4, v3, vcc
	v_lshlrev_b32_e32 v4, 4, v2
	v_add_co_u32_e32 v4, vcc, v5, v4
	v_addc_co_u32_e32 v5, vcc, 0, v3, vcc
	global_load_dwordx4 v[10:13], v[4:5], off
	v_mbcnt_lo_u32_b32 v3, -1, 0
	v_mbcnt_hi_u32_b32 v6, -1, v3
	v_and_b32_e32 v3, 0x70, v6
	v_xor_b32_e32 v4, 8, v6
	v_add_u32_e32 v9, 16, v3
	v_cmp_lt_i32_e32 vcc, v4, v9
	v_cndmask_b32_e32 v3, v6, v4, vcc
	v_lshlrev_b32_e32 v3, 2, v3
	v_xor_b32_e32 v16, 1, v6
	s_mov_b32 s0, 0x3fb8aa3b
	s_mov_b32 s1, 0xc2ce8ed0
	;; [unrolled: 1-line block ×3, first 2 shown]
	v_bfe_u32 v0, v0, 20, 10
	s_waitcnt vmcnt(0)
	v_max_f32_e32 v4, v11, v11
	v_max_f32_e32 v5, v10, v10
	;; [unrolled: 1-line block ×3, first 2 shown]
	v_max3_f32 v5, v4, v12, v13
	ds_bpermute_b32 v14, v3, v5
	v_xor_b32_e32 v4, 4, v6
	v_cmp_lt_i32_e32 vcc, v4, v9
	v_cndmask_b32_e32 v4, v6, v4, vcc
	v_lshlrev_b32_e32 v4, 2, v4
	s_waitcnt lgkmcnt(0)
	v_max_f32_e32 v14, v14, v14
	v_max_f32_e32 v14, v5, v14
	ds_bpermute_b32 v15, v4, v14
	v_xor_b32_e32 v5, 2, v6
	v_cmp_lt_i32_e32 vcc, v5, v9
	v_cndmask_b32_e32 v5, v6, v5, vcc
	v_lshlrev_b32_e32 v5, 2, v5
	s_waitcnt lgkmcnt(0)
	v_max_f32_e32 v15, v15, v15
	v_max_f32_e32 v14, v14, v15
	ds_bpermute_b32 v15, v5, v14
	v_cmp_lt_i32_e32 vcc, v16, v9
	v_cndmask_b32_e32 v6, v6, v16, vcc
	v_lshlrev_b32_e32 v6, 2, v6
	s_waitcnt lgkmcnt(0)
	v_max_f32_e32 v9, v15, v15
	v_max_f32_e32 v9, v14, v9
	ds_bpermute_b32 v14, v6, v9
	v_mov_b32_e32 v15, 0x7f800000
	s_waitcnt lgkmcnt(0)
	v_max_f32_e32 v14, v14, v14
	v_max_f32_e32 v14, v9, v14
	v_pk_add_f32 v[12:13], v[12:13], v[14:15] op_sel_hi:[1,0] neg_lo:[0,1] neg_hi:[0,1]
	v_mul_f32_e32 v9, 0x3fb8aa3b, v13
	v_pk_add_f32 v[10:11], v[10:11], v[14:15] op_sel_hi:[1,0] neg_lo:[0,1] neg_hi:[0,1]
	v_mul_f32_e32 v14, 0x3fb8aa3b, v12
	v_fma_f32 v18, v13, s0, -v9
	v_rndne_f32_e32 v19, v9
	v_mul_f32_e32 v16, 0x3fb8aa3b, v11
	v_fma_f32 v20, v12, s0, -v14
	v_rndne_f32_e32 v21, v14
	v_fmac_f32_e32 v18, 0x32a5705f, v13
	v_sub_f32_e32 v9, v9, v19
	v_mul_f32_e32 v17, 0x3fb8aa3b, v10
	v_fma_f32 v22, v11, s0, -v16
	v_rndne_f32_e32 v23, v16
	v_fmac_f32_e32 v20, 0x32a5705f, v12
	v_sub_f32_e32 v14, v14, v21
	v_add_f32_e32 v9, v9, v18
	v_fma_f32 v24, v10, s0, -v17
	v_rndne_f32_e32 v25, v17
	v_cvt_i32_f32_e32 v19, v19
	v_fmac_f32_e32 v22, 0x32a5705f, v11
	v_sub_f32_e32 v16, v16, v23
	v_add_f32_e32 v14, v14, v20
	v_exp_f32_e32 v9, v9
	v_cvt_i32_f32_e32 v21, v21
	v_fmac_f32_e32 v24, 0x32a5705f, v10
	v_sub_f32_e32 v17, v17, v25
	v_add_f32_e32 v16, v16, v22
	v_exp_f32_e32 v14, v14
	v_cvt_i32_f32_e32 v23, v23
	v_add_f32_e32 v17, v17, v24
	v_exp_f32_e32 v16, v16
	v_cvt_i32_f32_e32 v25, v25
	v_exp_f32_e32 v17, v17
	v_ldexp_f32 v9, v9, v19
	v_cmp_ngt_f32_e32 vcc, s1, v13
	v_ldexp_f32 v14, v14, v21
	v_cndmask_b32_e32 v9, 0, v9, vcc
	v_cmp_ngt_f32_e32 vcc, s1, v12
	v_ldexp_f32 v16, v16, v23
	v_cndmask_b32_e32 v14, 0, v14, vcc
	;; [unrolled: 3-line block ×3, first 2 shown]
	v_cmp_ngt_f32_e32 vcc, s1, v10
	v_cndmask_b32_e32 v17, 0, v17, vcc
	v_cmp_nlt_f32_e32 vcc, s2, v13
	v_cndmask_b32_e32 v13, v15, v9, vcc
	v_cmp_nlt_f32_e32 vcc, s2, v12
	;; [unrolled: 2-line block ×4, first 2 shown]
	v_cndmask_b32_e32 v10, v15, v17, vcc
	v_add_f32_e32 v9, v10, v11
	v_add_f32_e32 v9, v9, v12
	;; [unrolled: 1-line block ×3, first 2 shown]
	ds_bpermute_b32 v14, v3, v9
	s_load_dwordx4 s[8:11], s[6:7], 0x30
	s_load_dwordx2 s[0:1], s[4:5], 0x4
	s_waitcnt lgkmcnt(0)
	s_mov_b32 s11, 0
	v_add_f32_e32 v9, v9, v14
	ds_bpermute_b32 v14, v4, v9
	s_lshr_b32 s0, s0, 16
	s_mul_i32 s0, s0, s1
	v_mul_lo_u32 v7, s0, v7
	v_mad_u32_u24 v7, v8, s1, v7
	s_waitcnt lgkmcnt(0)
	v_add_f32_e32 v9, v9, v14
	ds_bpermute_b32 v14, v5, v9
	v_add_lshl_u32 v0, v7, v0, 4
	s_cmp_lt_i32 s8, 1
	s_waitcnt lgkmcnt(0)
	v_add_f32_e32 v9, v9, v14
	ds_bpermute_b32 v14, v6, v9
	s_waitcnt lgkmcnt(0)
	v_add_f32_e32 v8, v9, v14
	v_div_scale_f32 v9, s[0:1], v8, v8, 1.0
	v_rcp_f32_e32 v14, v9
	v_div_scale_f32 v7, vcc, 1.0, v8, 1.0
	v_fma_f32 v15, -v9, v14, 1.0
	v_fmac_f32_e32 v14, v15, v14
	v_mul_f32_e32 v15, v7, v14
	v_fma_f32 v16, -v9, v15, v7
	v_fmac_f32_e32 v15, v16, v14
	v_fma_f32 v7, -v9, v15, v7
	v_div_fmas_f32 v7, v7, v14, v15
	v_div_fixup_f32 v14, v7, v8, 1.0
	v_pk_mul_f32 v[8:9], v[14:15], v[10:11] op_sel_hi:[0,1]
	v_pk_mul_f32 v[10:11], v[14:15], v[12:13] op_sel_hi:[0,1]
	ds_write_b128 v0, v[8:11]
	s_cbranch_scc1 .LBB57_27
; %bb.5:
	s_load_dwordx4 s[4:7], s[6:7], 0x20
	v_lshlrev_b32_e32 v7, 2, v2
	v_cmp_eq_u32_e32 vcc, 0, v2
	v_mul_lo_u32 v8, v1, s8
	v_mov_b32_e32 v9, 0xc61c4000
	s_branch .LBB57_7
.LBB57_6:                               ;   in Loop: Header=BB57_7 Depth=1
	s_or_b64 exec, exec, s[0:1]
	s_cmp_lg_u32 s8, s11
	v_add_u32_e32 v1, s20, v1
	s_cbranch_scc0 .LBB57_27
.LBB57_7:                               ; =>This Inner Loop Header: Depth=1
	ds_read_b128 v[10:13], v0
	s_waitcnt lgkmcnt(0)
	v_cmp_gt_f32_e64 s[0:1], v11, v10
	v_cndmask_b32_e64 v10, v10, v11, s[0:1]
	v_cndmask_b32_e64 v11, 0, 1, s[0:1]
	v_cmp_gt_f32_e64 s[0:1], v12, v10
	v_cndmask_b32_e64 v10, v10, v12, s[0:1]
	v_cndmask_b32_e64 v12, v11, 2, s[0:1]
	;; [unrolled: 3-line block ×3, first 2 shown]
	ds_bpermute_b32 v12, v3, v11
	v_or_b32_e32 v10, v7, v10
	ds_bpermute_b32 v13, v3, v10
	s_waitcnt lgkmcnt(1)
	v_cmp_lt_f32_e64 s[16:17], v11, v12
	v_cmp_nlt_f32_e64 s[0:1], v11, v12
	s_and_saveexec_b64 s[18:19], s[0:1]
	s_cbranch_execz .LBB57_9
; %bb.8:                                ;   in Loop: Header=BB57_7 Depth=1
	v_cmp_eq_f32_e64 s[0:1], v11, v12
	s_waitcnt lgkmcnt(0)
	v_cmp_lt_i32_e64 s[2:3], v13, v10
	s_and_b64 s[0:1], s[0:1], s[2:3]
	s_andn2_b64 s[2:3], s[16:17], exec
	s_and_b64 s[0:1], s[0:1], exec
	s_or_b64 s[16:17], s[2:3], s[0:1]
.LBB57_9:                               ;   in Loop: Header=BB57_7 Depth=1
	s_or_b64 exec, exec, s[18:19]
	s_and_saveexec_b64 s[0:1], s[16:17]
	s_cbranch_execz .LBB57_11
; %bb.10:                               ;   in Loop: Header=BB57_7 Depth=1
	v_mov_b32_e32 v11, v12
	s_waitcnt lgkmcnt(0)
	v_mov_b32_e32 v10, v13
.LBB57_11:                              ;   in Loop: Header=BB57_7 Depth=1
	s_or_b64 exec, exec, s[0:1]
	s_waitcnt lgkmcnt(0)
	ds_bpermute_b32 v13, v4, v11
	ds_bpermute_b32 v12, v4, v10
	s_waitcnt lgkmcnt(1)
	v_cmp_lt_f32_e64 s[16:17], v11, v13
	v_cmp_nlt_f32_e64 s[0:1], v11, v13
	s_and_saveexec_b64 s[18:19], s[0:1]
	s_cbranch_execz .LBB57_13
; %bb.12:                               ;   in Loop: Header=BB57_7 Depth=1
	v_cmp_eq_f32_e64 s[0:1], v11, v13
	s_waitcnt lgkmcnt(0)
	v_cmp_lt_i32_e64 s[2:3], v12, v10
	s_and_b64 s[0:1], s[0:1], s[2:3]
	s_andn2_b64 s[2:3], s[16:17], exec
	s_and_b64 s[0:1], s[0:1], exec
	s_or_b64 s[16:17], s[2:3], s[0:1]
.LBB57_13:                              ;   in Loop: Header=BB57_7 Depth=1
	s_or_b64 exec, exec, s[18:19]
	s_and_saveexec_b64 s[0:1], s[16:17]
	s_cbranch_execz .LBB57_15
; %bb.14:                               ;   in Loop: Header=BB57_7 Depth=1
	v_mov_b32_e32 v11, v13
	s_waitcnt lgkmcnt(0)
	v_mov_b32_e32 v10, v12
.LBB57_15:                              ;   in Loop: Header=BB57_7 Depth=1
	s_or_b64 exec, exec, s[0:1]
	ds_bpermute_b32 v13, v5, v11
	s_waitcnt lgkmcnt(1)
	ds_bpermute_b32 v12, v5, v10
	s_waitcnt lgkmcnt(1)
	v_cmp_lt_f32_e64 s[16:17], v11, v13
	v_cmp_nlt_f32_e64 s[0:1], v11, v13
	s_and_saveexec_b64 s[18:19], s[0:1]
	s_cbranch_execz .LBB57_17
; %bb.16:                               ;   in Loop: Header=BB57_7 Depth=1
	v_cmp_eq_f32_e64 s[0:1], v11, v13
	s_waitcnt lgkmcnt(0)
	v_cmp_lt_i32_e64 s[2:3], v12, v10
	s_and_b64 s[0:1], s[0:1], s[2:3]
	s_andn2_b64 s[2:3], s[16:17], exec
	s_and_b64 s[0:1], s[0:1], exec
	s_or_b64 s[16:17], s[2:3], s[0:1]
.LBB57_17:                              ;   in Loop: Header=BB57_7 Depth=1
	s_or_b64 exec, exec, s[18:19]
	s_and_saveexec_b64 s[0:1], s[16:17]
	s_cbranch_execz .LBB57_19
; %bb.18:                               ;   in Loop: Header=BB57_7 Depth=1
	v_mov_b32_e32 v11, v13
	s_waitcnt lgkmcnt(0)
	v_mov_b32_e32 v10, v12
.LBB57_19:                              ;   in Loop: Header=BB57_7 Depth=1
	s_or_b64 exec, exec, s[0:1]
	s_waitcnt lgkmcnt(0)
	ds_bpermute_b32 v12, v6, v11
	ds_bpermute_b32 v13, v6, v10
	s_waitcnt lgkmcnt(1)
	v_cmp_lt_f32_e64 s[16:17], v11, v12
	v_cmp_nlt_f32_e64 s[0:1], v11, v12
	s_and_saveexec_b64 s[18:19], s[0:1]
	s_cbranch_execnz .LBB57_25
; %bb.20:                               ;   in Loop: Header=BB57_7 Depth=1
	s_or_b64 exec, exec, s[18:19]
	s_and_saveexec_b64 s[0:1], s[16:17]
	s_cbranch_execnz .LBB57_26
.LBB57_21:                              ;   in Loop: Header=BB57_7 Depth=1
	s_or_b64 exec, exec, s[0:1]
	s_and_saveexec_b64 s[16:17], vcc
	s_cbranch_execz .LBB57_23
.LBB57_22:                              ;   in Loop: Header=BB57_7 Depth=1
	v_add_u32_e32 v12, s11, v8
	s_waitcnt lgkmcnt(0)
	v_ashrrev_i32_e32 v13, 31, v12
	v_cmp_le_i32_e64 s[0:1], s9, v10
	v_cmp_gt_i32_e64 s[2:3], s10, v10
	v_lshlrev_b64 v[14:15], 2, v[12:13]
	s_and_b64 s[2:3], s[0:1], s[2:3]
	v_mov_b32_e32 v17, s13
	v_add_co_u32_e64 v16, s[0:1], s12, v14
	v_addc_co_u32_e64 v17, s[0:1], v17, v15, s[0:1]
	global_store_dword v[16:17], v11, off
	v_subrev_u32_e32 v11, s9, v10
	v_ashrrev_i32_e32 v16, 31, v11
	s_and_b64 s[0:1], s[14:15], s[2:3]
	v_lshlrev_b64 v[12:13], 3, v[12:13]
	v_cndmask_b32_e64 v17, 0, v16, s[0:1]
	v_cndmask_b32_e64 v16, 64, v11, s[0:1]
	v_mov_b32_e32 v11, s5
	v_add_co_u32_e64 v12, s[0:1], s4, v12
	v_addc_co_u32_e64 v13, s[0:1], v11, v13, s[0:1]
	global_store_dwordx2 v[12:13], v[16:17], off
	v_mov_b32_e32 v11, s7
	v_add_co_u32_e64 v12, s[0:1], s6, v14
	v_addc_co_u32_e64 v13, s[0:1], v11, v15, s[0:1]
	global_store_dword v[12:13], v1, off
.LBB57_23:                              ;   in Loop: Header=BB57_7 Depth=1
	s_or_b64 exec, exec, s[16:17]
	v_ashrrev_i32_e32 v12, 31, v10
	v_lshrrev_b32_e32 v11, 30, v12
	s_waitcnt lgkmcnt(0)
	v_add_u32_e32 v13, v10, v11
	v_ashrrev_i32_e32 v11, 2, v13
	v_ashrrev_i32_e32 v13, 31, v13
	v_lshrrev_b32_e32 v13, 28, v13
	v_add_u32_e32 v13, v11, v13
	s_add_i32 s11, s11, 1
	v_and_b32_e32 v13, -16, v13
	s_cmp_lt_i32 s11, s8
	v_sub_u32_e32 v13, v11, v13
	s_cselect_b64 s[2:3], -1, 0
	v_cmp_eq_u32_e64 s[0:1], v2, v13
	s_and_b64 s[2:3], s[2:3], s[0:1]
	s_and_saveexec_b64 s[0:1], s[2:3]
	s_cbranch_execz .LBB57_6
; %bb.24:                               ;   in Loop: Header=BB57_7 Depth=1
	v_lshrrev_b32_e32 v12, 26, v12
	v_add_u32_e32 v12, v10, v12
	v_lshlrev_b32_e32 v11, 2, v11
	v_ashrrev_i32_e32 v12, 6, v12
	v_sub_u32_e32 v10, v10, v11
	v_lshl_add_u32 v10, v12, 2, v10
	v_lshl_add_u32 v10, v10, 2, v0
	ds_write_b32 v10, v9
	s_branch .LBB57_6
.LBB57_25:                              ;   in Loop: Header=BB57_7 Depth=1
	v_cmp_eq_f32_e64 s[0:1], v11, v12
	s_waitcnt lgkmcnt(0)
	v_cmp_lt_i32_e64 s[2:3], v13, v10
	s_and_b64 s[0:1], s[0:1], s[2:3]
	s_andn2_b64 s[2:3], s[16:17], exec
	s_and_b64 s[0:1], s[0:1], exec
	s_or_b64 s[16:17], s[2:3], s[0:1]
	s_or_b64 exec, exec, s[18:19]
	s_and_saveexec_b64 s[0:1], s[16:17]
	s_cbranch_execz .LBB57_21
.LBB57_26:                              ;   in Loop: Header=BB57_7 Depth=1
	v_mov_b32_e32 v11, v12
	s_waitcnt lgkmcnt(0)
	v_mov_b32_e32 v10, v13
	s_or_b64 exec, exec, s[0:1]
	s_and_saveexec_b64 s[16:17], vcc
	s_cbranch_execnz .LBB57_22
	s_branch .LBB57_23
.LBB57_27:
	s_endpgm
	.section	.rodata,"a",@progbits
	.p2align	6, 0x0
	.amdhsa_kernel _ZN4vllm3moe17topkGatingSoftmaxILi4ELi64ELi4ELi16ELi64ElEEvPKfPKbPfiPT4_Piiii
		.amdhsa_group_segment_fixed_size 4096
		.amdhsa_private_segment_fixed_size 0
		.amdhsa_kernarg_size 60
		.amdhsa_user_sgpr_count 8
		.amdhsa_user_sgpr_private_segment_buffer 1
		.amdhsa_user_sgpr_dispatch_ptr 1
		.amdhsa_user_sgpr_queue_ptr 0
		.amdhsa_user_sgpr_kernarg_segment_ptr 1
		.amdhsa_user_sgpr_dispatch_id 0
		.amdhsa_user_sgpr_flat_scratch_init 0
		.amdhsa_user_sgpr_kernarg_preload_length 0
		.amdhsa_user_sgpr_kernarg_preload_offset 0
		.amdhsa_user_sgpr_private_segment_size 0
		.amdhsa_uses_dynamic_stack 0
		.amdhsa_system_sgpr_private_segment_wavefront_offset 0
		.amdhsa_system_sgpr_workgroup_id_x 1
		.amdhsa_system_sgpr_workgroup_id_y 0
		.amdhsa_system_sgpr_workgroup_id_z 0
		.amdhsa_system_sgpr_workgroup_info 0
		.amdhsa_system_vgpr_workitem_id 2
		.amdhsa_next_free_vgpr 26
		.amdhsa_next_free_sgpr 21
		.amdhsa_accum_offset 28
		.amdhsa_reserve_vcc 1
		.amdhsa_reserve_flat_scratch 0
		.amdhsa_float_round_mode_32 0
		.amdhsa_float_round_mode_16_64 0
		.amdhsa_float_denorm_mode_32 3
		.amdhsa_float_denorm_mode_16_64 3
		.amdhsa_dx10_clamp 1
		.amdhsa_ieee_mode 1
		.amdhsa_fp16_overflow 0
		.amdhsa_tg_split 0
		.amdhsa_exception_fp_ieee_invalid_op 0
		.amdhsa_exception_fp_denorm_src 0
		.amdhsa_exception_fp_ieee_div_zero 0
		.amdhsa_exception_fp_ieee_overflow 0
		.amdhsa_exception_fp_ieee_underflow 0
		.amdhsa_exception_fp_ieee_inexact 0
		.amdhsa_exception_int_div_zero 0
	.end_amdhsa_kernel
	.section	.text._ZN4vllm3moe17topkGatingSoftmaxILi4ELi64ELi4ELi16ELi64ElEEvPKfPKbPfiPT4_Piiii,"axG",@progbits,_ZN4vllm3moe17topkGatingSoftmaxILi4ELi64ELi4ELi16ELi64ElEEvPKfPKbPfiPT4_Piiii,comdat
.Lfunc_end57:
	.size	_ZN4vllm3moe17topkGatingSoftmaxILi4ELi64ELi4ELi16ELi64ElEEvPKfPKbPfiPT4_Piiii, .Lfunc_end57-_ZN4vllm3moe17topkGatingSoftmaxILi4ELi64ELi4ELi16ELi64ElEEvPKfPKbPfiPT4_Piiii
                                        ; -- End function
	.section	.AMDGPU.csdata,"",@progbits
; Kernel info:
; codeLenInByte = 1856
; NumSgprs: 25
; NumVgprs: 26
; NumAgprs: 0
; TotalNumVgprs: 26
; ScratchSize: 0
; MemoryBound: 0
; FloatMode: 240
; IeeeMode: 1
; LDSByteSize: 4096 bytes/workgroup (compile time only)
; SGPRBlocks: 3
; VGPRBlocks: 3
; NumSGPRsForWavesPerEU: 25
; NumVGPRsForWavesPerEU: 26
; AccumOffset: 28
; Occupancy: 8
; WaveLimiterHint : 0
; COMPUTE_PGM_RSRC2:SCRATCH_EN: 0
; COMPUTE_PGM_RSRC2:USER_SGPR: 8
; COMPUTE_PGM_RSRC2:TRAP_HANDLER: 0
; COMPUTE_PGM_RSRC2:TGID_X_EN: 1
; COMPUTE_PGM_RSRC2:TGID_Y_EN: 0
; COMPUTE_PGM_RSRC2:TGID_Z_EN: 0
; COMPUTE_PGM_RSRC2:TIDIG_COMP_CNT: 2
; COMPUTE_PGM_RSRC3_GFX90A:ACCUM_OFFSET: 6
; COMPUTE_PGM_RSRC3_GFX90A:TG_SPLIT: 0
	.section	.text._ZN4vllm3moe17topkGatingSoftmaxILi4ELi64ELi4ELi16ELi32ElEEvPKfPKbPfiPT4_Piiii,"axG",@progbits,_ZN4vllm3moe17topkGatingSoftmaxILi4ELi64ELi4ELi16ELi32ElEEvPKfPKbPfiPT4_Piiii,comdat
	.protected	_ZN4vllm3moe17topkGatingSoftmaxILi4ELi64ELi4ELi16ELi32ElEEvPKfPKbPfiPT4_Piiii ; -- Begin function _ZN4vllm3moe17topkGatingSoftmaxILi4ELi64ELi4ELi16ELi32ElEEvPKfPKbPfiPT4_Piiii
	.globl	_ZN4vllm3moe17topkGatingSoftmaxILi4ELi64ELi4ELi16ELi32ElEEvPKfPKbPfiPT4_Piiii
	.p2align	8
	.type	_ZN4vllm3moe17topkGatingSoftmaxILi4ELi64ELi4ELi16ELi32ElEEvPKfPKbPfiPT4_Piiii,@function
_ZN4vllm3moe17topkGatingSoftmaxILi4ELi64ELi4ELi16ELi32ElEEvPKfPKbPfiPT4_Piiii: ; @_ZN4vllm3moe17topkGatingSoftmaxILi4ELi64ELi4ELi16ELi32ElEEvPKfPKbPfiPT4_Piiii
; %bb.0:
	s_load_dword s20, s[6:7], 0x18
	v_and_b32_e32 v7, 0x3ff, v0
	v_bfe_u32 v8, v0, 10, 10
	s_lshl_b32 s0, s8, 3
	v_lshlrev_b32_e32 v1, 1, v8
	v_lshrrev_b32_e32 v2, 4, v7
	v_add3_u32 v1, s0, v1, v2
	s_waitcnt lgkmcnt(0)
	v_cmp_gt_i32_e32 vcc, s20, v1
	s_and_saveexec_b64 s[0:1], vcc
	s_cbranch_execz .LBB58_27
; %bb.1:
	s_load_dwordx4 s[0:3], s[6:7], 0x0
	s_load_dwordx2 s[12:13], s[6:7], 0x10
	s_waitcnt lgkmcnt(0)
	s_cmp_eq_u64 s[2:3], 0
	s_cbranch_scc1 .LBB58_3
; %bb.2:
	v_ashrrev_i32_e32 v3, 31, v1
	v_mov_b32_e32 v4, s3
	v_add_co_u32_e32 v2, vcc, s2, v1
	v_addc_co_u32_e32 v3, vcc, v4, v3, vcc
	global_load_ubyte v2, v[2:3], off
	s_waitcnt vmcnt(0)
	v_and_b32_e32 v2, 1, v2
	v_cmp_eq_u32_e32 vcc, 1, v2
	s_xor_b64 s[2:3], vcc, -1
	s_orn2_b64 s[14:15], s[2:3], exec
	s_branch .LBB58_4
.LBB58_3:
	s_mov_b64 s[14:15], -1
.LBB58_4:
	v_lshlrev_b32_e32 v2, 6, v1
	v_ashrrev_i32_e32 v3, 31, v2
	v_lshlrev_b64 v[2:3], 2, v[2:3]
	v_mov_b32_e32 v4, s1
	v_add_co_u32_e32 v5, vcc, s0, v2
	v_and_b32_e32 v2, 15, v7
	v_addc_co_u32_e32 v3, vcc, v4, v3, vcc
	v_lshlrev_b32_e32 v4, 4, v2
	v_add_co_u32_e32 v4, vcc, v5, v4
	v_addc_co_u32_e32 v5, vcc, 0, v3, vcc
	global_load_dwordx4 v[10:13], v[4:5], off
	v_mbcnt_lo_u32_b32 v3, -1, 0
	v_mbcnt_hi_u32_b32 v6, -1, v3
	v_and_b32_e32 v3, 0x70, v6
	v_xor_b32_e32 v4, 8, v6
	v_add_u32_e32 v9, 16, v3
	v_cmp_lt_i32_e32 vcc, v4, v9
	v_cndmask_b32_e32 v3, v6, v4, vcc
	v_lshlrev_b32_e32 v3, 2, v3
	v_xor_b32_e32 v16, 1, v6
	s_mov_b32 s0, 0x3fb8aa3b
	s_mov_b32 s1, 0xc2ce8ed0
	;; [unrolled: 1-line block ×3, first 2 shown]
	v_bfe_u32 v0, v0, 20, 10
	s_waitcnt vmcnt(0)
	v_max_f32_e32 v4, v11, v11
	v_max_f32_e32 v5, v10, v10
	v_max_f32_e32 v4, v5, v4
	v_max3_f32 v5, v4, v12, v13
	ds_bpermute_b32 v14, v3, v5
	v_xor_b32_e32 v4, 4, v6
	v_cmp_lt_i32_e32 vcc, v4, v9
	v_cndmask_b32_e32 v4, v6, v4, vcc
	v_lshlrev_b32_e32 v4, 2, v4
	s_waitcnt lgkmcnt(0)
	v_max_f32_e32 v14, v14, v14
	v_max_f32_e32 v14, v5, v14
	ds_bpermute_b32 v15, v4, v14
	v_xor_b32_e32 v5, 2, v6
	v_cmp_lt_i32_e32 vcc, v5, v9
	v_cndmask_b32_e32 v5, v6, v5, vcc
	v_lshlrev_b32_e32 v5, 2, v5
	s_waitcnt lgkmcnt(0)
	v_max_f32_e32 v15, v15, v15
	v_max_f32_e32 v14, v14, v15
	ds_bpermute_b32 v15, v5, v14
	v_cmp_lt_i32_e32 vcc, v16, v9
	v_cndmask_b32_e32 v6, v6, v16, vcc
	v_lshlrev_b32_e32 v6, 2, v6
	s_waitcnt lgkmcnt(0)
	v_max_f32_e32 v9, v15, v15
	v_max_f32_e32 v9, v14, v9
	ds_bpermute_b32 v14, v6, v9
	v_mov_b32_e32 v15, 0x7f800000
	s_waitcnt lgkmcnt(0)
	v_max_f32_e32 v14, v14, v14
	v_max_f32_e32 v14, v9, v14
	v_pk_add_f32 v[12:13], v[12:13], v[14:15] op_sel_hi:[1,0] neg_lo:[0,1] neg_hi:[0,1]
	v_mul_f32_e32 v9, 0x3fb8aa3b, v13
	v_pk_add_f32 v[10:11], v[10:11], v[14:15] op_sel_hi:[1,0] neg_lo:[0,1] neg_hi:[0,1]
	v_mul_f32_e32 v14, 0x3fb8aa3b, v12
	v_fma_f32 v18, v13, s0, -v9
	v_rndne_f32_e32 v19, v9
	v_mul_f32_e32 v16, 0x3fb8aa3b, v11
	v_fma_f32 v20, v12, s0, -v14
	v_rndne_f32_e32 v21, v14
	v_fmac_f32_e32 v18, 0x32a5705f, v13
	v_sub_f32_e32 v9, v9, v19
	v_mul_f32_e32 v17, 0x3fb8aa3b, v10
	v_fma_f32 v22, v11, s0, -v16
	v_rndne_f32_e32 v23, v16
	v_fmac_f32_e32 v20, 0x32a5705f, v12
	v_sub_f32_e32 v14, v14, v21
	v_add_f32_e32 v9, v9, v18
	v_fma_f32 v24, v10, s0, -v17
	v_rndne_f32_e32 v25, v17
	v_cvt_i32_f32_e32 v19, v19
	v_fmac_f32_e32 v22, 0x32a5705f, v11
	v_sub_f32_e32 v16, v16, v23
	v_add_f32_e32 v14, v14, v20
	v_exp_f32_e32 v9, v9
	v_cvt_i32_f32_e32 v21, v21
	v_fmac_f32_e32 v24, 0x32a5705f, v10
	v_sub_f32_e32 v17, v17, v25
	v_add_f32_e32 v16, v16, v22
	v_exp_f32_e32 v14, v14
	v_cvt_i32_f32_e32 v23, v23
	v_add_f32_e32 v17, v17, v24
	v_exp_f32_e32 v16, v16
	v_cvt_i32_f32_e32 v25, v25
	v_exp_f32_e32 v17, v17
	v_ldexp_f32 v9, v9, v19
	v_cmp_ngt_f32_e32 vcc, s1, v13
	v_ldexp_f32 v14, v14, v21
	v_cndmask_b32_e32 v9, 0, v9, vcc
	v_cmp_ngt_f32_e32 vcc, s1, v12
	v_ldexp_f32 v16, v16, v23
	v_cndmask_b32_e32 v14, 0, v14, vcc
	;; [unrolled: 3-line block ×3, first 2 shown]
	v_cmp_ngt_f32_e32 vcc, s1, v10
	v_cndmask_b32_e32 v17, 0, v17, vcc
	v_cmp_nlt_f32_e32 vcc, s2, v13
	v_cndmask_b32_e32 v13, v15, v9, vcc
	v_cmp_nlt_f32_e32 vcc, s2, v12
	;; [unrolled: 2-line block ×4, first 2 shown]
	v_cndmask_b32_e32 v10, v15, v17, vcc
	v_add_f32_e32 v9, v10, v11
	v_add_f32_e32 v9, v9, v12
	;; [unrolled: 1-line block ×3, first 2 shown]
	ds_bpermute_b32 v14, v3, v9
	s_load_dwordx4 s[8:11], s[6:7], 0x30
	s_load_dwordx2 s[0:1], s[4:5], 0x4
	s_waitcnt lgkmcnt(0)
	s_mov_b32 s11, 0
	v_add_f32_e32 v9, v9, v14
	ds_bpermute_b32 v14, v4, v9
	s_lshr_b32 s0, s0, 16
	v_mul_u32_u24_e32 v8, s1, v8
	s_mul_i32 s0, s0, s1
	v_mad_u32_u24 v7, s0, v7, v8
	s_waitcnt lgkmcnt(0)
	v_add_f32_e32 v9, v9, v14
	ds_bpermute_b32 v14, v5, v9
	v_add_lshl_u32 v0, v7, v0, 4
	s_cmp_lt_i32 s8, 1
	s_waitcnt lgkmcnt(0)
	v_add_f32_e32 v9, v9, v14
	ds_bpermute_b32 v14, v6, v9
	s_waitcnt lgkmcnt(0)
	v_add_f32_e32 v8, v9, v14
	v_div_scale_f32 v9, s[0:1], v8, v8, 1.0
	v_rcp_f32_e32 v14, v9
	v_div_scale_f32 v7, vcc, 1.0, v8, 1.0
	v_fma_f32 v15, -v9, v14, 1.0
	v_fmac_f32_e32 v14, v15, v14
	v_mul_f32_e32 v15, v7, v14
	v_fma_f32 v16, -v9, v15, v7
	v_fmac_f32_e32 v15, v16, v14
	v_fma_f32 v7, -v9, v15, v7
	v_div_fmas_f32 v7, v7, v14, v15
	v_div_fixup_f32 v14, v7, v8, 1.0
	v_pk_mul_f32 v[8:9], v[14:15], v[10:11] op_sel_hi:[0,1]
	v_pk_mul_f32 v[10:11], v[14:15], v[12:13] op_sel_hi:[0,1]
	ds_write_b128 v0, v[8:11]
	s_cbranch_scc1 .LBB58_27
; %bb.5:
	s_load_dwordx4 s[4:7], s[6:7], 0x20
	v_lshlrev_b32_e32 v7, 2, v2
	v_cmp_eq_u32_e32 vcc, 0, v2
	v_mul_lo_u32 v8, v1, s8
	v_mov_b32_e32 v9, 0xc61c4000
	s_branch .LBB58_7
.LBB58_6:                               ;   in Loop: Header=BB58_7 Depth=1
	s_or_b64 exec, exec, s[0:1]
	s_cmp_lg_u32 s8, s11
	v_add_u32_e32 v1, s20, v1
	s_cbranch_scc0 .LBB58_27
.LBB58_7:                               ; =>This Inner Loop Header: Depth=1
	ds_read_b128 v[10:13], v0
	s_waitcnt lgkmcnt(0)
	v_cmp_gt_f32_e64 s[0:1], v11, v10
	v_cndmask_b32_e64 v10, v10, v11, s[0:1]
	v_cndmask_b32_e64 v11, 0, 1, s[0:1]
	v_cmp_gt_f32_e64 s[0:1], v12, v10
	v_cndmask_b32_e64 v10, v10, v12, s[0:1]
	v_cndmask_b32_e64 v12, v11, 2, s[0:1]
	;; [unrolled: 3-line block ×3, first 2 shown]
	ds_bpermute_b32 v12, v3, v11
	v_or_b32_e32 v10, v7, v10
	ds_bpermute_b32 v13, v3, v10
	s_waitcnt lgkmcnt(1)
	v_cmp_lt_f32_e64 s[16:17], v11, v12
	v_cmp_nlt_f32_e64 s[0:1], v11, v12
	s_and_saveexec_b64 s[18:19], s[0:1]
	s_cbranch_execz .LBB58_9
; %bb.8:                                ;   in Loop: Header=BB58_7 Depth=1
	v_cmp_eq_f32_e64 s[0:1], v11, v12
	s_waitcnt lgkmcnt(0)
	v_cmp_lt_i32_e64 s[2:3], v13, v10
	s_and_b64 s[0:1], s[0:1], s[2:3]
	s_andn2_b64 s[2:3], s[16:17], exec
	s_and_b64 s[0:1], s[0:1], exec
	s_or_b64 s[16:17], s[2:3], s[0:1]
.LBB58_9:                               ;   in Loop: Header=BB58_7 Depth=1
	s_or_b64 exec, exec, s[18:19]
	s_and_saveexec_b64 s[0:1], s[16:17]
	s_cbranch_execz .LBB58_11
; %bb.10:                               ;   in Loop: Header=BB58_7 Depth=1
	v_mov_b32_e32 v11, v12
	s_waitcnt lgkmcnt(0)
	v_mov_b32_e32 v10, v13
.LBB58_11:                              ;   in Loop: Header=BB58_7 Depth=1
	s_or_b64 exec, exec, s[0:1]
	s_waitcnt lgkmcnt(0)
	ds_bpermute_b32 v13, v4, v11
	ds_bpermute_b32 v12, v4, v10
	s_waitcnt lgkmcnt(1)
	v_cmp_lt_f32_e64 s[16:17], v11, v13
	v_cmp_nlt_f32_e64 s[0:1], v11, v13
	s_and_saveexec_b64 s[18:19], s[0:1]
	s_cbranch_execz .LBB58_13
; %bb.12:                               ;   in Loop: Header=BB58_7 Depth=1
	v_cmp_eq_f32_e64 s[0:1], v11, v13
	s_waitcnt lgkmcnt(0)
	v_cmp_lt_i32_e64 s[2:3], v12, v10
	s_and_b64 s[0:1], s[0:1], s[2:3]
	s_andn2_b64 s[2:3], s[16:17], exec
	s_and_b64 s[0:1], s[0:1], exec
	s_or_b64 s[16:17], s[2:3], s[0:1]
.LBB58_13:                              ;   in Loop: Header=BB58_7 Depth=1
	s_or_b64 exec, exec, s[18:19]
	s_and_saveexec_b64 s[0:1], s[16:17]
	s_cbranch_execz .LBB58_15
; %bb.14:                               ;   in Loop: Header=BB58_7 Depth=1
	v_mov_b32_e32 v11, v13
	s_waitcnt lgkmcnt(0)
	v_mov_b32_e32 v10, v12
.LBB58_15:                              ;   in Loop: Header=BB58_7 Depth=1
	s_or_b64 exec, exec, s[0:1]
	ds_bpermute_b32 v13, v5, v11
	s_waitcnt lgkmcnt(1)
	ds_bpermute_b32 v12, v5, v10
	s_waitcnt lgkmcnt(1)
	v_cmp_lt_f32_e64 s[16:17], v11, v13
	v_cmp_nlt_f32_e64 s[0:1], v11, v13
	s_and_saveexec_b64 s[18:19], s[0:1]
	s_cbranch_execz .LBB58_17
; %bb.16:                               ;   in Loop: Header=BB58_7 Depth=1
	v_cmp_eq_f32_e64 s[0:1], v11, v13
	s_waitcnt lgkmcnt(0)
	v_cmp_lt_i32_e64 s[2:3], v12, v10
	s_and_b64 s[0:1], s[0:1], s[2:3]
	s_andn2_b64 s[2:3], s[16:17], exec
	s_and_b64 s[0:1], s[0:1], exec
	s_or_b64 s[16:17], s[2:3], s[0:1]
.LBB58_17:                              ;   in Loop: Header=BB58_7 Depth=1
	s_or_b64 exec, exec, s[18:19]
	s_and_saveexec_b64 s[0:1], s[16:17]
	s_cbranch_execz .LBB58_19
; %bb.18:                               ;   in Loop: Header=BB58_7 Depth=1
	v_mov_b32_e32 v11, v13
	s_waitcnt lgkmcnt(0)
	v_mov_b32_e32 v10, v12
.LBB58_19:                              ;   in Loop: Header=BB58_7 Depth=1
	s_or_b64 exec, exec, s[0:1]
	s_waitcnt lgkmcnt(0)
	ds_bpermute_b32 v12, v6, v11
	ds_bpermute_b32 v13, v6, v10
	s_waitcnt lgkmcnt(1)
	v_cmp_lt_f32_e64 s[16:17], v11, v12
	v_cmp_nlt_f32_e64 s[0:1], v11, v12
	s_and_saveexec_b64 s[18:19], s[0:1]
	s_cbranch_execnz .LBB58_25
; %bb.20:                               ;   in Loop: Header=BB58_7 Depth=1
	s_or_b64 exec, exec, s[18:19]
	s_and_saveexec_b64 s[0:1], s[16:17]
	s_cbranch_execnz .LBB58_26
.LBB58_21:                              ;   in Loop: Header=BB58_7 Depth=1
	s_or_b64 exec, exec, s[0:1]
	s_and_saveexec_b64 s[16:17], vcc
	s_cbranch_execz .LBB58_23
.LBB58_22:                              ;   in Loop: Header=BB58_7 Depth=1
	v_add_u32_e32 v12, s11, v8
	s_waitcnt lgkmcnt(0)
	v_ashrrev_i32_e32 v13, 31, v12
	v_cmp_le_i32_e64 s[0:1], s9, v10
	v_cmp_gt_i32_e64 s[2:3], s10, v10
	v_lshlrev_b64 v[14:15], 2, v[12:13]
	s_and_b64 s[2:3], s[0:1], s[2:3]
	v_mov_b32_e32 v17, s13
	v_add_co_u32_e64 v16, s[0:1], s12, v14
	v_addc_co_u32_e64 v17, s[0:1], v17, v15, s[0:1]
	global_store_dword v[16:17], v11, off
	v_subrev_u32_e32 v11, s9, v10
	v_ashrrev_i32_e32 v16, 31, v11
	s_and_b64 s[0:1], s[14:15], s[2:3]
	v_lshlrev_b64 v[12:13], 3, v[12:13]
	v_cndmask_b32_e64 v17, 0, v16, s[0:1]
	v_cndmask_b32_e64 v16, 64, v11, s[0:1]
	v_mov_b32_e32 v11, s5
	v_add_co_u32_e64 v12, s[0:1], s4, v12
	v_addc_co_u32_e64 v13, s[0:1], v11, v13, s[0:1]
	global_store_dwordx2 v[12:13], v[16:17], off
	v_mov_b32_e32 v11, s7
	v_add_co_u32_e64 v12, s[0:1], s6, v14
	v_addc_co_u32_e64 v13, s[0:1], v11, v15, s[0:1]
	global_store_dword v[12:13], v1, off
.LBB58_23:                              ;   in Loop: Header=BB58_7 Depth=1
	s_or_b64 exec, exec, s[16:17]
	v_ashrrev_i32_e32 v12, 31, v10
	v_lshrrev_b32_e32 v11, 30, v12
	s_waitcnt lgkmcnt(0)
	v_add_u32_e32 v13, v10, v11
	v_ashrrev_i32_e32 v11, 2, v13
	v_ashrrev_i32_e32 v13, 31, v13
	v_lshrrev_b32_e32 v13, 28, v13
	v_add_u32_e32 v13, v11, v13
	s_add_i32 s11, s11, 1
	v_and_b32_e32 v13, -16, v13
	s_cmp_lt_i32 s11, s8
	v_sub_u32_e32 v13, v11, v13
	s_cselect_b64 s[2:3], -1, 0
	v_cmp_eq_u32_e64 s[0:1], v2, v13
	s_and_b64 s[2:3], s[2:3], s[0:1]
	s_and_saveexec_b64 s[0:1], s[2:3]
	s_cbranch_execz .LBB58_6
; %bb.24:                               ;   in Loop: Header=BB58_7 Depth=1
	v_lshrrev_b32_e32 v12, 26, v12
	v_add_u32_e32 v12, v10, v12
	v_lshlrev_b32_e32 v11, 2, v11
	v_ashrrev_i32_e32 v12, 6, v12
	v_sub_u32_e32 v10, v10, v11
	v_lshl_add_u32 v10, v12, 2, v10
	v_lshl_add_u32 v10, v10, 2, v0
	ds_write_b32 v10, v9
	s_branch .LBB58_6
.LBB58_25:                              ;   in Loop: Header=BB58_7 Depth=1
	v_cmp_eq_f32_e64 s[0:1], v11, v12
	s_waitcnt lgkmcnt(0)
	v_cmp_lt_i32_e64 s[2:3], v13, v10
	s_and_b64 s[0:1], s[0:1], s[2:3]
	s_andn2_b64 s[2:3], s[16:17], exec
	s_and_b64 s[0:1], s[0:1], exec
	s_or_b64 s[16:17], s[2:3], s[0:1]
	s_or_b64 exec, exec, s[18:19]
	s_and_saveexec_b64 s[0:1], s[16:17]
	s_cbranch_execz .LBB58_21
.LBB58_26:                              ;   in Loop: Header=BB58_7 Depth=1
	v_mov_b32_e32 v11, v12
	s_waitcnt lgkmcnt(0)
	v_mov_b32_e32 v10, v13
	s_or_b64 exec, exec, s[0:1]
	s_and_saveexec_b64 s[16:17], vcc
	s_cbranch_execnz .LBB58_22
	s_branch .LBB58_23
.LBB58_27:
	s_endpgm
	.section	.rodata,"a",@progbits
	.p2align	6, 0x0
	.amdhsa_kernel _ZN4vllm3moe17topkGatingSoftmaxILi4ELi64ELi4ELi16ELi32ElEEvPKfPKbPfiPT4_Piiii
		.amdhsa_group_segment_fixed_size 2048
		.amdhsa_private_segment_fixed_size 0
		.amdhsa_kernarg_size 60
		.amdhsa_user_sgpr_count 8
		.amdhsa_user_sgpr_private_segment_buffer 1
		.amdhsa_user_sgpr_dispatch_ptr 1
		.amdhsa_user_sgpr_queue_ptr 0
		.amdhsa_user_sgpr_kernarg_segment_ptr 1
		.amdhsa_user_sgpr_dispatch_id 0
		.amdhsa_user_sgpr_flat_scratch_init 0
		.amdhsa_user_sgpr_kernarg_preload_length 0
		.amdhsa_user_sgpr_kernarg_preload_offset 0
		.amdhsa_user_sgpr_private_segment_size 0
		.amdhsa_uses_dynamic_stack 0
		.amdhsa_system_sgpr_private_segment_wavefront_offset 0
		.amdhsa_system_sgpr_workgroup_id_x 1
		.amdhsa_system_sgpr_workgroup_id_y 0
		.amdhsa_system_sgpr_workgroup_id_z 0
		.amdhsa_system_sgpr_workgroup_info 0
		.amdhsa_system_vgpr_workitem_id 2
		.amdhsa_next_free_vgpr 26
		.amdhsa_next_free_sgpr 21
		.amdhsa_accum_offset 28
		.amdhsa_reserve_vcc 1
		.amdhsa_reserve_flat_scratch 0
		.amdhsa_float_round_mode_32 0
		.amdhsa_float_round_mode_16_64 0
		.amdhsa_float_denorm_mode_32 3
		.amdhsa_float_denorm_mode_16_64 3
		.amdhsa_dx10_clamp 1
		.amdhsa_ieee_mode 1
		.amdhsa_fp16_overflow 0
		.amdhsa_tg_split 0
		.amdhsa_exception_fp_ieee_invalid_op 0
		.amdhsa_exception_fp_denorm_src 0
		.amdhsa_exception_fp_ieee_div_zero 0
		.amdhsa_exception_fp_ieee_overflow 0
		.amdhsa_exception_fp_ieee_underflow 0
		.amdhsa_exception_fp_ieee_inexact 0
		.amdhsa_exception_int_div_zero 0
	.end_amdhsa_kernel
	.section	.text._ZN4vllm3moe17topkGatingSoftmaxILi4ELi64ELi4ELi16ELi32ElEEvPKfPKbPfiPT4_Piiii,"axG",@progbits,_ZN4vllm3moe17topkGatingSoftmaxILi4ELi64ELi4ELi16ELi32ElEEvPKfPKbPfiPT4_Piiii,comdat
.Lfunc_end58:
	.size	_ZN4vllm3moe17topkGatingSoftmaxILi4ELi64ELi4ELi16ELi32ElEEvPKfPKbPfiPT4_Piiii, .Lfunc_end58-_ZN4vllm3moe17topkGatingSoftmaxILi4ELi64ELi4ELi16ELi32ElEEvPKfPKbPfiPT4_Piiii
                                        ; -- End function
	.section	.AMDGPU.csdata,"",@progbits
; Kernel info:
; codeLenInByte = 1852
; NumSgprs: 25
; NumVgprs: 26
; NumAgprs: 0
; TotalNumVgprs: 26
; ScratchSize: 0
; MemoryBound: 0
; FloatMode: 240
; IeeeMode: 1
; LDSByteSize: 2048 bytes/workgroup (compile time only)
; SGPRBlocks: 3
; VGPRBlocks: 3
; NumSGPRsForWavesPerEU: 25
; NumVGPRsForWavesPerEU: 26
; AccumOffset: 28
; Occupancy: 8
; WaveLimiterHint : 0
; COMPUTE_PGM_RSRC2:SCRATCH_EN: 0
; COMPUTE_PGM_RSRC2:USER_SGPR: 8
; COMPUTE_PGM_RSRC2:TRAP_HANDLER: 0
; COMPUTE_PGM_RSRC2:TGID_X_EN: 1
; COMPUTE_PGM_RSRC2:TGID_Y_EN: 0
; COMPUTE_PGM_RSRC2:TGID_Z_EN: 0
; COMPUTE_PGM_RSRC2:TIDIG_COMP_CNT: 2
; COMPUTE_PGM_RSRC3_GFX90A:ACCUM_OFFSET: 6
; COMPUTE_PGM_RSRC3_GFX90A:TG_SPLIT: 0
	.section	.text._ZN4vllm3moe17topkGatingSoftmaxILi4ELi128ELi4ELi16ELi64ElEEvPKfPKbPfiPT4_Piiii,"axG",@progbits,_ZN4vllm3moe17topkGatingSoftmaxILi4ELi128ELi4ELi16ELi64ElEEvPKfPKbPfiPT4_Piiii,comdat
	.protected	_ZN4vllm3moe17topkGatingSoftmaxILi4ELi128ELi4ELi16ELi64ElEEvPKfPKbPfiPT4_Piiii ; -- Begin function _ZN4vllm3moe17topkGatingSoftmaxILi4ELi128ELi4ELi16ELi64ElEEvPKfPKbPfiPT4_Piiii
	.globl	_ZN4vllm3moe17topkGatingSoftmaxILi4ELi128ELi4ELi16ELi64ElEEvPKfPKbPfiPT4_Piiii
	.p2align	8
	.type	_ZN4vllm3moe17topkGatingSoftmaxILi4ELi128ELi4ELi16ELi64ElEEvPKfPKbPfiPT4_Piiii,@function
_ZN4vllm3moe17topkGatingSoftmaxILi4ELi128ELi4ELi16ELi64ElEEvPKfPKbPfiPT4_Piiii: ; @_ZN4vllm3moe17topkGatingSoftmaxILi4ELi128ELi4ELi16ELi64ElEEvPKfPKbPfiPT4_Piiii
; %bb.0:
	s_load_dword s20, s[6:7], 0x18
	v_and_b32_e32 v8, 0x3ff, v0
	v_bfe_u32 v9, v0, 10, 10
	s_lshl_b32 s0, s8, 3
	v_lshlrev_b32_e32 v1, 1, v9
	v_lshrrev_b32_e32 v2, 5, v8
	v_add3_u32 v1, s0, v1, v2
	s_waitcnt lgkmcnt(0)
	v_cmp_gt_i32_e32 vcc, s20, v1
	s_and_saveexec_b64 s[0:1], vcc
	s_cbranch_execz .LBB59_31
; %bb.1:
	s_load_dwordx4 s[0:3], s[6:7], 0x0
	s_load_dwordx2 s[12:13], s[6:7], 0x10
	s_waitcnt lgkmcnt(0)
	s_cmp_eq_u64 s[2:3], 0
	s_cbranch_scc1 .LBB59_3
; %bb.2:
	v_ashrrev_i32_e32 v3, 31, v1
	v_mov_b32_e32 v4, s3
	v_add_co_u32_e32 v2, vcc, s2, v1
	v_addc_co_u32_e32 v3, vcc, v4, v3, vcc
	global_load_ubyte v2, v[2:3], off
	s_waitcnt vmcnt(0)
	v_and_b32_e32 v2, 1, v2
	v_cmp_eq_u32_e32 vcc, 1, v2
	s_xor_b64 s[2:3], vcc, -1
	s_orn2_b64 s[14:15], s[2:3], exec
	s_branch .LBB59_4
.LBB59_3:
	s_mov_b64 s[14:15], -1
.LBB59_4:
	v_lshlrev_b32_e32 v2, 7, v1
	v_ashrrev_i32_e32 v3, 31, v2
	v_lshlrev_b64 v[2:3], 2, v[2:3]
	v_mov_b32_e32 v4, s1
	v_add_co_u32_e32 v5, vcc, s0, v2
	v_and_b32_e32 v2, 31, v8
	v_addc_co_u32_e32 v3, vcc, v4, v3, vcc
	v_lshlrev_b32_e32 v4, 4, v2
	v_add_co_u32_e32 v4, vcc, v5, v4
	v_addc_co_u32_e32 v5, vcc, 0, v3, vcc
	global_load_dwordx4 v[10:13], v[4:5], off
	v_mbcnt_lo_u32_b32 v3, -1, 0
	v_mbcnt_hi_u32_b32 v7, -1, v3
	v_and_b32_e32 v3, 0x60, v7
	v_xor_b32_e32 v4, 16, v7
	v_add_u32_e32 v14, 32, v3
	v_cmp_lt_i32_e32 vcc, v4, v14
	v_cndmask_b32_e32 v3, v7, v4, vcc
	v_lshlrev_b32_e32 v3, 2, v3
	v_xor_b32_e32 v17, 1, v7
	s_mov_b32 s0, 0x3fb8aa3b
	s_mov_b32 s1, 0xc2ce8ed0
	;; [unrolled: 1-line block ×3, first 2 shown]
	v_bfe_u32 v0, v0, 20, 10
	s_waitcnt vmcnt(0)
	v_max_f32_e32 v4, v11, v11
	v_max_f32_e32 v5, v10, v10
	;; [unrolled: 1-line block ×3, first 2 shown]
	v_max3_f32 v5, v4, v12, v13
	ds_bpermute_b32 v6, v3, v5
	v_xor_b32_e32 v4, 8, v7
	v_cmp_lt_i32_e32 vcc, v4, v14
	v_cndmask_b32_e32 v4, v7, v4, vcc
	v_lshlrev_b32_e32 v4, 2, v4
	s_waitcnt lgkmcnt(0)
	v_max_f32_e32 v6, v6, v6
	v_max_f32_e32 v6, v5, v6
	ds_bpermute_b32 v15, v4, v6
	v_xor_b32_e32 v5, 4, v7
	v_cmp_lt_i32_e32 vcc, v5, v14
	v_cndmask_b32_e32 v5, v7, v5, vcc
	v_lshlrev_b32_e32 v5, 2, v5
	s_waitcnt lgkmcnt(0)
	v_max_f32_e32 v15, v15, v15
	v_max_f32_e32 v15, v6, v15
	ds_bpermute_b32 v16, v5, v15
	v_xor_b32_e32 v6, 2, v7
	v_cmp_lt_i32_e32 vcc, v6, v14
	v_cndmask_b32_e32 v6, v7, v6, vcc
	v_lshlrev_b32_e32 v6, 2, v6
	s_waitcnt lgkmcnt(0)
	v_max_f32_e32 v16, v16, v16
	v_max_f32_e32 v15, v15, v16
	ds_bpermute_b32 v16, v6, v15
	v_cmp_lt_i32_e32 vcc, v17, v14
	v_cndmask_b32_e32 v7, v7, v17, vcc
	v_lshlrev_b32_e32 v7, 2, v7
	s_waitcnt lgkmcnt(0)
	v_max_f32_e32 v14, v16, v16
	v_max_f32_e32 v14, v15, v14
	ds_bpermute_b32 v15, v7, v14
	v_mov_b32_e32 v16, 0x7f800000
	s_waitcnt lgkmcnt(0)
	v_max_f32_e32 v15, v15, v15
	v_max_f32_e32 v14, v14, v15
	v_pk_add_f32 v[12:13], v[12:13], v[14:15] op_sel_hi:[1,0] neg_lo:[0,1] neg_hi:[0,1]
	v_pk_add_f32 v[10:11], v[10:11], v[14:15] op_sel_hi:[1,0] neg_lo:[0,1] neg_hi:[0,1]
	v_mul_f32_e32 v14, 0x3fb8aa3b, v13
	v_mul_f32_e32 v15, 0x3fb8aa3b, v12
	v_fma_f32 v19, v13, s0, -v14
	v_rndne_f32_e32 v20, v14
	v_mul_f32_e32 v17, 0x3fb8aa3b, v11
	v_fma_f32 v21, v12, s0, -v15
	v_rndne_f32_e32 v22, v15
	v_fmac_f32_e32 v19, 0x32a5705f, v13
	v_sub_f32_e32 v14, v14, v20
	v_mul_f32_e32 v18, 0x3fb8aa3b, v10
	v_fma_f32 v23, v11, s0, -v17
	v_rndne_f32_e32 v24, v17
	v_fmac_f32_e32 v21, 0x32a5705f, v12
	v_sub_f32_e32 v15, v15, v22
	v_add_f32_e32 v14, v14, v19
	v_fma_f32 v25, v10, s0, -v18
	v_rndne_f32_e32 v26, v18
	v_cvt_i32_f32_e32 v20, v20
	v_fmac_f32_e32 v23, 0x32a5705f, v11
	v_sub_f32_e32 v17, v17, v24
	v_add_f32_e32 v15, v15, v21
	v_exp_f32_e32 v14, v14
	v_cvt_i32_f32_e32 v22, v22
	v_fmac_f32_e32 v25, 0x32a5705f, v10
	v_sub_f32_e32 v18, v18, v26
	v_add_f32_e32 v17, v17, v23
	v_exp_f32_e32 v15, v15
	v_cvt_i32_f32_e32 v24, v24
	v_add_f32_e32 v18, v18, v25
	v_exp_f32_e32 v17, v17
	v_cvt_i32_f32_e32 v26, v26
	v_exp_f32_e32 v18, v18
	v_ldexp_f32 v14, v14, v20
	v_cmp_ngt_f32_e32 vcc, s1, v13
	v_ldexp_f32 v15, v15, v22
	v_cndmask_b32_e32 v14, 0, v14, vcc
	v_cmp_ngt_f32_e32 vcc, s1, v12
	v_ldexp_f32 v17, v17, v24
	v_cndmask_b32_e32 v15, 0, v15, vcc
	;; [unrolled: 3-line block ×3, first 2 shown]
	v_cmp_ngt_f32_e32 vcc, s1, v10
	v_cndmask_b32_e32 v18, 0, v18, vcc
	v_cmp_nlt_f32_e32 vcc, s2, v13
	v_cndmask_b32_e32 v13, v16, v14, vcc
	v_cmp_nlt_f32_e32 vcc, s2, v12
	;; [unrolled: 2-line block ×4, first 2 shown]
	v_cndmask_b32_e32 v10, v16, v18, vcc
	v_add_f32_e32 v14, v10, v11
	v_add_f32_e32 v14, v14, v12
	;; [unrolled: 1-line block ×3, first 2 shown]
	ds_bpermute_b32 v15, v3, v14
	s_load_dwordx4 s[8:11], s[6:7], 0x30
	s_load_dwordx2 s[0:1], s[4:5], 0x4
	s_waitcnt lgkmcnt(0)
	s_mov_b32 s11, 0
	v_add_f32_e32 v14, v14, v15
	ds_bpermute_b32 v15, v4, v14
	s_lshr_b32 s0, s0, 16
	s_mul_i32 s0, s0, s1
	v_mul_lo_u32 v8, s0, v8
	v_mad_u32_u24 v8, v9, s1, v8
	s_waitcnt lgkmcnt(0)
	v_add_f32_e32 v14, v14, v15
	ds_bpermute_b32 v15, v5, v14
	v_add_lshl_u32 v0, v8, v0, 4
	s_cmp_lt_i32 s8, 1
	s_waitcnt lgkmcnt(0)
	v_add_f32_e32 v14, v14, v15
	ds_bpermute_b32 v15, v6, v14
	s_waitcnt lgkmcnt(0)
	v_add_f32_e32 v14, v14, v15
	ds_bpermute_b32 v15, v7, v14
	s_waitcnt lgkmcnt(0)
	v_add_f32_e32 v9, v14, v15
	v_div_scale_f32 v14, s[0:1], v9, v9, 1.0
	v_rcp_f32_e32 v15, v14
	v_div_scale_f32 v8, vcc, 1.0, v9, 1.0
	v_fma_f32 v16, -v14, v15, 1.0
	v_fmac_f32_e32 v15, v16, v15
	v_mul_f32_e32 v16, v8, v15
	v_fma_f32 v17, -v14, v16, v8
	v_fmac_f32_e32 v16, v17, v15
	v_fma_f32 v8, -v14, v16, v8
	v_div_fmas_f32 v8, v8, v15, v16
	v_div_fixup_f32 v14, v8, v9, 1.0
	v_pk_mul_f32 v[8:9], v[14:15], v[10:11] op_sel_hi:[0,1]
	v_pk_mul_f32 v[10:11], v[14:15], v[12:13] op_sel_hi:[0,1]
	ds_write_b128 v0, v[8:11]
	s_cbranch_scc1 .LBB59_31
; %bb.5:
	s_load_dwordx4 s[4:7], s[6:7], 0x20
	v_lshlrev_b32_e32 v8, 2, v2
	v_cmp_eq_u32_e32 vcc, 0, v2
	v_mul_lo_u32 v9, v1, s8
	v_mov_b32_e32 v10, 0xc61c4000
	v_mov_b32_e32 v11, 0x80
	s_branch .LBB59_7
.LBB59_6:                               ;   in Loop: Header=BB59_7 Depth=1
	s_or_b64 exec, exec, s[0:1]
	s_cmp_lg_u32 s8, s11
	v_add_u32_e32 v1, s20, v1
	s_cbranch_scc0 .LBB59_31
.LBB59_7:                               ; =>This Inner Loop Header: Depth=1
	ds_read_b128 v[12:15], v0
	s_waitcnt lgkmcnt(0)
	v_cmp_gt_f32_e64 s[0:1], v13, v12
	v_cndmask_b32_e64 v12, v12, v13, s[0:1]
	v_cndmask_b32_e64 v13, 0, 1, s[0:1]
	v_cmp_gt_f32_e64 s[0:1], v14, v12
	v_cndmask_b32_e64 v12, v12, v14, s[0:1]
	v_cndmask_b32_e64 v14, v13, 2, s[0:1]
	;; [unrolled: 3-line block ×3, first 2 shown]
	ds_bpermute_b32 v14, v3, v13
	v_or_b32_e32 v12, v8, v12
	ds_bpermute_b32 v15, v3, v12
	s_waitcnt lgkmcnt(1)
	v_cmp_lt_f32_e64 s[16:17], v13, v14
	v_cmp_nlt_f32_e64 s[0:1], v13, v14
	s_and_saveexec_b64 s[18:19], s[0:1]
	s_cbranch_execz .LBB59_9
; %bb.8:                                ;   in Loop: Header=BB59_7 Depth=1
	v_cmp_eq_f32_e64 s[0:1], v13, v14
	s_waitcnt lgkmcnt(0)
	v_cmp_lt_i32_e64 s[2:3], v15, v12
	s_and_b64 s[0:1], s[0:1], s[2:3]
	s_andn2_b64 s[2:3], s[16:17], exec
	s_and_b64 s[0:1], s[0:1], exec
	s_or_b64 s[16:17], s[2:3], s[0:1]
.LBB59_9:                               ;   in Loop: Header=BB59_7 Depth=1
	s_or_b64 exec, exec, s[18:19]
	s_and_saveexec_b64 s[0:1], s[16:17]
	s_cbranch_execz .LBB59_11
; %bb.10:                               ;   in Loop: Header=BB59_7 Depth=1
	v_mov_b32_e32 v13, v14
	s_waitcnt lgkmcnt(0)
	v_mov_b32_e32 v12, v15
.LBB59_11:                              ;   in Loop: Header=BB59_7 Depth=1
	s_or_b64 exec, exec, s[0:1]
	s_waitcnt lgkmcnt(0)
	ds_bpermute_b32 v15, v4, v13
	ds_bpermute_b32 v14, v4, v12
	s_waitcnt lgkmcnt(1)
	v_cmp_lt_f32_e64 s[16:17], v13, v15
	v_cmp_nlt_f32_e64 s[0:1], v13, v15
	s_and_saveexec_b64 s[18:19], s[0:1]
	s_cbranch_execz .LBB59_13
; %bb.12:                               ;   in Loop: Header=BB59_7 Depth=1
	v_cmp_eq_f32_e64 s[0:1], v13, v15
	s_waitcnt lgkmcnt(0)
	v_cmp_lt_i32_e64 s[2:3], v14, v12
	s_and_b64 s[0:1], s[0:1], s[2:3]
	s_andn2_b64 s[2:3], s[16:17], exec
	s_and_b64 s[0:1], s[0:1], exec
	s_or_b64 s[16:17], s[2:3], s[0:1]
.LBB59_13:                              ;   in Loop: Header=BB59_7 Depth=1
	s_or_b64 exec, exec, s[18:19]
	s_and_saveexec_b64 s[0:1], s[16:17]
	s_cbranch_execz .LBB59_15
; %bb.14:                               ;   in Loop: Header=BB59_7 Depth=1
	v_mov_b32_e32 v13, v15
	s_waitcnt lgkmcnt(0)
	v_mov_b32_e32 v12, v14
.LBB59_15:                              ;   in Loop: Header=BB59_7 Depth=1
	s_or_b64 exec, exec, s[0:1]
	ds_bpermute_b32 v15, v5, v13
	s_waitcnt lgkmcnt(1)
	ds_bpermute_b32 v14, v5, v12
	s_waitcnt lgkmcnt(1)
	v_cmp_lt_f32_e64 s[16:17], v13, v15
	v_cmp_nlt_f32_e64 s[0:1], v13, v15
	s_and_saveexec_b64 s[18:19], s[0:1]
	s_cbranch_execz .LBB59_17
; %bb.16:                               ;   in Loop: Header=BB59_7 Depth=1
	v_cmp_eq_f32_e64 s[0:1], v13, v15
	s_waitcnt lgkmcnt(0)
	v_cmp_lt_i32_e64 s[2:3], v14, v12
	s_and_b64 s[0:1], s[0:1], s[2:3]
	s_andn2_b64 s[2:3], s[16:17], exec
	s_and_b64 s[0:1], s[0:1], exec
	s_or_b64 s[16:17], s[2:3], s[0:1]
.LBB59_17:                              ;   in Loop: Header=BB59_7 Depth=1
	s_or_b64 exec, exec, s[18:19]
	s_and_saveexec_b64 s[0:1], s[16:17]
	s_cbranch_execz .LBB59_19
; %bb.18:                               ;   in Loop: Header=BB59_7 Depth=1
	v_mov_b32_e32 v13, v15
	s_waitcnt lgkmcnt(0)
	v_mov_b32_e32 v12, v14
.LBB59_19:                              ;   in Loop: Header=BB59_7 Depth=1
	s_or_b64 exec, exec, s[0:1]
	ds_bpermute_b32 v15, v6, v13
	s_waitcnt lgkmcnt(1)
	ds_bpermute_b32 v14, v6, v12
	s_waitcnt lgkmcnt(1)
	v_cmp_lt_f32_e64 s[16:17], v13, v15
	v_cmp_nlt_f32_e64 s[0:1], v13, v15
	s_and_saveexec_b64 s[18:19], s[0:1]
	s_cbranch_execz .LBB59_21
; %bb.20:                               ;   in Loop: Header=BB59_7 Depth=1
	v_cmp_eq_f32_e64 s[0:1], v13, v15
	s_waitcnt lgkmcnt(0)
	v_cmp_lt_i32_e64 s[2:3], v14, v12
	s_and_b64 s[0:1], s[0:1], s[2:3]
	s_andn2_b64 s[2:3], s[16:17], exec
	s_and_b64 s[0:1], s[0:1], exec
	s_or_b64 s[16:17], s[2:3], s[0:1]
.LBB59_21:                              ;   in Loop: Header=BB59_7 Depth=1
	s_or_b64 exec, exec, s[18:19]
	s_and_saveexec_b64 s[0:1], s[16:17]
	s_cbranch_execz .LBB59_23
; %bb.22:                               ;   in Loop: Header=BB59_7 Depth=1
	v_mov_b32_e32 v13, v15
	s_waitcnt lgkmcnt(0)
	v_mov_b32_e32 v12, v14
.LBB59_23:                              ;   in Loop: Header=BB59_7 Depth=1
	s_or_b64 exec, exec, s[0:1]
	s_waitcnt lgkmcnt(0)
	ds_bpermute_b32 v14, v7, v13
	ds_bpermute_b32 v15, v7, v12
	s_waitcnt lgkmcnt(1)
	v_cmp_lt_f32_e64 s[16:17], v13, v14
	v_cmp_nlt_f32_e64 s[0:1], v13, v14
	s_and_saveexec_b64 s[18:19], s[0:1]
	s_cbranch_execnz .LBB59_29
; %bb.24:                               ;   in Loop: Header=BB59_7 Depth=1
	s_or_b64 exec, exec, s[18:19]
	s_and_saveexec_b64 s[0:1], s[16:17]
	s_cbranch_execnz .LBB59_30
.LBB59_25:                              ;   in Loop: Header=BB59_7 Depth=1
	s_or_b64 exec, exec, s[0:1]
	s_and_saveexec_b64 s[16:17], vcc
	s_cbranch_execz .LBB59_27
.LBB59_26:                              ;   in Loop: Header=BB59_7 Depth=1
	v_add_u32_e32 v14, s11, v9
	s_waitcnt lgkmcnt(0)
	v_ashrrev_i32_e32 v15, 31, v14
	v_cmp_le_i32_e64 s[0:1], s9, v12
	v_cmp_gt_i32_e64 s[2:3], s10, v12
	v_lshlrev_b64 v[16:17], 2, v[14:15]
	s_and_b64 s[2:3], s[0:1], s[2:3]
	v_mov_b32_e32 v19, s13
	v_add_co_u32_e64 v18, s[0:1], s12, v16
	v_addc_co_u32_e64 v19, s[0:1], v19, v17, s[0:1]
	global_store_dword v[18:19], v13, off
	v_subrev_u32_e32 v13, s9, v12
	v_ashrrev_i32_e32 v18, 31, v13
	s_and_b64 s[0:1], s[14:15], s[2:3]
	v_lshlrev_b64 v[14:15], 3, v[14:15]
	v_cndmask_b32_e64 v19, 0, v18, s[0:1]
	v_cndmask_b32_e64 v18, v11, v13, s[0:1]
	v_mov_b32_e32 v13, s5
	v_add_co_u32_e64 v14, s[0:1], s4, v14
	v_addc_co_u32_e64 v15, s[0:1], v13, v15, s[0:1]
	global_store_dwordx2 v[14:15], v[18:19], off
	v_mov_b32_e32 v13, s7
	v_add_co_u32_e64 v14, s[0:1], s6, v16
	v_addc_co_u32_e64 v15, s[0:1], v13, v17, s[0:1]
	global_store_dword v[14:15], v1, off
.LBB59_27:                              ;   in Loop: Header=BB59_7 Depth=1
	s_or_b64 exec, exec, s[16:17]
	v_ashrrev_i32_e32 v14, 31, v12
	v_lshrrev_b32_e32 v13, 30, v14
	s_waitcnt lgkmcnt(0)
	v_add_u32_e32 v15, v12, v13
	v_ashrrev_i32_e32 v13, 2, v15
	v_ashrrev_i32_e32 v15, 31, v15
	v_lshrrev_b32_e32 v15, 27, v15
	v_add_u32_e32 v15, v13, v15
	s_add_i32 s11, s11, 1
	v_and_b32_e32 v15, 0xffffffe0, v15
	s_cmp_lt_i32 s11, s8
	v_sub_u32_e32 v15, v13, v15
	s_cselect_b64 s[2:3], -1, 0
	v_cmp_eq_u32_e64 s[0:1], v2, v15
	s_and_b64 s[2:3], s[2:3], s[0:1]
	s_and_saveexec_b64 s[0:1], s[2:3]
	s_cbranch_execz .LBB59_6
; %bb.28:                               ;   in Loop: Header=BB59_7 Depth=1
	v_lshrrev_b32_e32 v14, 25, v14
	v_add_u32_e32 v14, v12, v14
	v_lshlrev_b32_e32 v13, 2, v13
	v_ashrrev_i32_e32 v14, 7, v14
	v_sub_u32_e32 v12, v12, v13
	v_lshl_add_u32 v12, v14, 2, v12
	v_lshl_add_u32 v12, v12, 2, v0
	ds_write_b32 v12, v10
	s_branch .LBB59_6
.LBB59_29:                              ;   in Loop: Header=BB59_7 Depth=1
	v_cmp_eq_f32_e64 s[0:1], v13, v14
	s_waitcnt lgkmcnt(0)
	v_cmp_lt_i32_e64 s[2:3], v15, v12
	s_and_b64 s[0:1], s[0:1], s[2:3]
	s_andn2_b64 s[2:3], s[16:17], exec
	s_and_b64 s[0:1], s[0:1], exec
	s_or_b64 s[16:17], s[2:3], s[0:1]
	s_or_b64 exec, exec, s[18:19]
	s_and_saveexec_b64 s[0:1], s[16:17]
	s_cbranch_execz .LBB59_25
.LBB59_30:                              ;   in Loop: Header=BB59_7 Depth=1
	v_mov_b32_e32 v13, v14
	s_waitcnt lgkmcnt(0)
	v_mov_b32_e32 v12, v15
	s_or_b64 exec, exec, s[0:1]
	s_and_saveexec_b64 s[16:17], vcc
	s_cbranch_execnz .LBB59_26
	s_branch .LBB59_27
.LBB59_31:
	s_endpgm
	.section	.rodata,"a",@progbits
	.p2align	6, 0x0
	.amdhsa_kernel _ZN4vllm3moe17topkGatingSoftmaxILi4ELi128ELi4ELi16ELi64ElEEvPKfPKbPfiPT4_Piiii
		.amdhsa_group_segment_fixed_size 4096
		.amdhsa_private_segment_fixed_size 0
		.amdhsa_kernarg_size 60
		.amdhsa_user_sgpr_count 8
		.amdhsa_user_sgpr_private_segment_buffer 1
		.amdhsa_user_sgpr_dispatch_ptr 1
		.amdhsa_user_sgpr_queue_ptr 0
		.amdhsa_user_sgpr_kernarg_segment_ptr 1
		.amdhsa_user_sgpr_dispatch_id 0
		.amdhsa_user_sgpr_flat_scratch_init 0
		.amdhsa_user_sgpr_kernarg_preload_length 0
		.amdhsa_user_sgpr_kernarg_preload_offset 0
		.amdhsa_user_sgpr_private_segment_size 0
		.amdhsa_uses_dynamic_stack 0
		.amdhsa_system_sgpr_private_segment_wavefront_offset 0
		.amdhsa_system_sgpr_workgroup_id_x 1
		.amdhsa_system_sgpr_workgroup_id_y 0
		.amdhsa_system_sgpr_workgroup_id_z 0
		.amdhsa_system_sgpr_workgroup_info 0
		.amdhsa_system_vgpr_workitem_id 2
		.amdhsa_next_free_vgpr 27
		.amdhsa_next_free_sgpr 21
		.amdhsa_accum_offset 28
		.amdhsa_reserve_vcc 1
		.amdhsa_reserve_flat_scratch 0
		.amdhsa_float_round_mode_32 0
		.amdhsa_float_round_mode_16_64 0
		.amdhsa_float_denorm_mode_32 3
		.amdhsa_float_denorm_mode_16_64 3
		.amdhsa_dx10_clamp 1
		.amdhsa_ieee_mode 1
		.amdhsa_fp16_overflow 0
		.amdhsa_tg_split 0
		.amdhsa_exception_fp_ieee_invalid_op 0
		.amdhsa_exception_fp_denorm_src 0
		.amdhsa_exception_fp_ieee_div_zero 0
		.amdhsa_exception_fp_ieee_overflow 0
		.amdhsa_exception_fp_ieee_underflow 0
		.amdhsa_exception_fp_ieee_inexact 0
		.amdhsa_exception_int_div_zero 0
	.end_amdhsa_kernel
	.section	.text._ZN4vllm3moe17topkGatingSoftmaxILi4ELi128ELi4ELi16ELi64ElEEvPKfPKbPfiPT4_Piiii,"axG",@progbits,_ZN4vllm3moe17topkGatingSoftmaxILi4ELi128ELi4ELi16ELi64ElEEvPKfPKbPfiPT4_Piiii,comdat
.Lfunc_end59:
	.size	_ZN4vllm3moe17topkGatingSoftmaxILi4ELi128ELi4ELi16ELi64ElEEvPKfPKbPfiPT4_Piiii, .Lfunc_end59-_ZN4vllm3moe17topkGatingSoftmaxILi4ELi128ELi4ELi16ELi64ElEEvPKfPKbPfiPT4_Piiii
                                        ; -- End function
	.section	.AMDGPU.csdata,"",@progbits
; Kernel info:
; codeLenInByte = 2032
; NumSgprs: 25
; NumVgprs: 27
; NumAgprs: 0
; TotalNumVgprs: 27
; ScratchSize: 0
; MemoryBound: 0
; FloatMode: 240
; IeeeMode: 1
; LDSByteSize: 4096 bytes/workgroup (compile time only)
; SGPRBlocks: 3
; VGPRBlocks: 3
; NumSGPRsForWavesPerEU: 25
; NumVGPRsForWavesPerEU: 27
; AccumOffset: 28
; Occupancy: 8
; WaveLimiterHint : 0
; COMPUTE_PGM_RSRC2:SCRATCH_EN: 0
; COMPUTE_PGM_RSRC2:USER_SGPR: 8
; COMPUTE_PGM_RSRC2:TRAP_HANDLER: 0
; COMPUTE_PGM_RSRC2:TGID_X_EN: 1
; COMPUTE_PGM_RSRC2:TGID_Y_EN: 0
; COMPUTE_PGM_RSRC2:TGID_Z_EN: 0
; COMPUTE_PGM_RSRC2:TIDIG_COMP_CNT: 2
; COMPUTE_PGM_RSRC3_GFX90A:ACCUM_OFFSET: 6
; COMPUTE_PGM_RSRC3_GFX90A:TG_SPLIT: 0
	.section	.text._ZN4vllm3moe17topkGatingSoftmaxILi4ELi128ELi4ELi16ELi32ElEEvPKfPKbPfiPT4_Piiii,"axG",@progbits,_ZN4vllm3moe17topkGatingSoftmaxILi4ELi128ELi4ELi16ELi32ElEEvPKfPKbPfiPT4_Piiii,comdat
	.protected	_ZN4vllm3moe17topkGatingSoftmaxILi4ELi128ELi4ELi16ELi32ElEEvPKfPKbPfiPT4_Piiii ; -- Begin function _ZN4vllm3moe17topkGatingSoftmaxILi4ELi128ELi4ELi16ELi32ElEEvPKfPKbPfiPT4_Piiii
	.globl	_ZN4vllm3moe17topkGatingSoftmaxILi4ELi128ELi4ELi16ELi32ElEEvPKfPKbPfiPT4_Piiii
	.p2align	8
	.type	_ZN4vllm3moe17topkGatingSoftmaxILi4ELi128ELi4ELi16ELi32ElEEvPKfPKbPfiPT4_Piiii,@function
_ZN4vllm3moe17topkGatingSoftmaxILi4ELi128ELi4ELi16ELi32ElEEvPKfPKbPfiPT4_Piiii: ; @_ZN4vllm3moe17topkGatingSoftmaxILi4ELi128ELi4ELi16ELi32ElEEvPKfPKbPfiPT4_Piiii
; %bb.0:
	s_load_dword s20, s[6:7], 0x18
	v_and_b32_e32 v8, 0x3ff, v0
	v_bfe_u32 v9, v0, 10, 10
	s_lshl_b32 s0, s8, 2
	v_lshrrev_b32_e32 v1, 5, v8
	v_add3_u32 v1, s0, v9, v1
	s_waitcnt lgkmcnt(0)
	v_cmp_gt_i32_e32 vcc, s20, v1
	s_and_saveexec_b64 s[0:1], vcc
	s_cbranch_execz .LBB60_31
; %bb.1:
	s_load_dwordx4 s[0:3], s[6:7], 0x0
	s_load_dwordx2 s[12:13], s[6:7], 0x10
	s_waitcnt lgkmcnt(0)
	s_cmp_eq_u64 s[2:3], 0
	s_cbranch_scc1 .LBB60_3
; %bb.2:
	v_ashrrev_i32_e32 v3, 31, v1
	v_mov_b32_e32 v4, s3
	v_add_co_u32_e32 v2, vcc, s2, v1
	v_addc_co_u32_e32 v3, vcc, v4, v3, vcc
	global_load_ubyte v2, v[2:3], off
	s_waitcnt vmcnt(0)
	v_and_b32_e32 v2, 1, v2
	v_cmp_eq_u32_e32 vcc, 1, v2
	s_xor_b64 s[2:3], vcc, -1
	s_orn2_b64 s[14:15], s[2:3], exec
	s_branch .LBB60_4
.LBB60_3:
	s_mov_b64 s[14:15], -1
.LBB60_4:
	v_lshlrev_b32_e32 v2, 7, v1
	v_ashrrev_i32_e32 v3, 31, v2
	v_lshlrev_b64 v[2:3], 2, v[2:3]
	v_mov_b32_e32 v4, s1
	v_add_co_u32_e32 v5, vcc, s0, v2
	v_and_b32_e32 v2, 31, v8
	v_addc_co_u32_e32 v3, vcc, v4, v3, vcc
	v_lshlrev_b32_e32 v4, 4, v2
	v_add_co_u32_e32 v4, vcc, v5, v4
	v_addc_co_u32_e32 v5, vcc, 0, v3, vcc
	global_load_dwordx4 v[10:13], v[4:5], off
	v_mbcnt_lo_u32_b32 v3, -1, 0
	v_mbcnt_hi_u32_b32 v7, -1, v3
	v_and_b32_e32 v3, 0x60, v7
	v_xor_b32_e32 v4, 16, v7
	v_add_u32_e32 v14, 32, v3
	v_cmp_lt_i32_e32 vcc, v4, v14
	v_cndmask_b32_e32 v3, v7, v4, vcc
	v_lshlrev_b32_e32 v3, 2, v3
	v_xor_b32_e32 v17, 1, v7
	s_mov_b32 s0, 0x3fb8aa3b
	s_mov_b32 s1, 0xc2ce8ed0
	s_mov_b32 s2, 0x42b17218
	v_bfe_u32 v0, v0, 20, 10
	s_waitcnt vmcnt(0)
	v_max_f32_e32 v4, v11, v11
	v_max_f32_e32 v5, v10, v10
	v_max_f32_e32 v4, v5, v4
	v_max3_f32 v5, v4, v12, v13
	ds_bpermute_b32 v6, v3, v5
	v_xor_b32_e32 v4, 8, v7
	v_cmp_lt_i32_e32 vcc, v4, v14
	v_cndmask_b32_e32 v4, v7, v4, vcc
	v_lshlrev_b32_e32 v4, 2, v4
	s_waitcnt lgkmcnt(0)
	v_max_f32_e32 v6, v6, v6
	v_max_f32_e32 v6, v5, v6
	ds_bpermute_b32 v15, v4, v6
	v_xor_b32_e32 v5, 4, v7
	v_cmp_lt_i32_e32 vcc, v5, v14
	v_cndmask_b32_e32 v5, v7, v5, vcc
	v_lshlrev_b32_e32 v5, 2, v5
	s_waitcnt lgkmcnt(0)
	v_max_f32_e32 v15, v15, v15
	v_max_f32_e32 v15, v6, v15
	;; [unrolled: 8-line block ×3, first 2 shown]
	ds_bpermute_b32 v16, v6, v15
	v_cmp_lt_i32_e32 vcc, v17, v14
	v_cndmask_b32_e32 v7, v7, v17, vcc
	v_lshlrev_b32_e32 v7, 2, v7
	s_waitcnt lgkmcnt(0)
	v_max_f32_e32 v14, v16, v16
	v_max_f32_e32 v14, v15, v14
	ds_bpermute_b32 v15, v7, v14
	v_mov_b32_e32 v16, 0x7f800000
	s_waitcnt lgkmcnt(0)
	v_max_f32_e32 v15, v15, v15
	v_max_f32_e32 v14, v14, v15
	v_pk_add_f32 v[12:13], v[12:13], v[14:15] op_sel_hi:[1,0] neg_lo:[0,1] neg_hi:[0,1]
	v_pk_add_f32 v[10:11], v[10:11], v[14:15] op_sel_hi:[1,0] neg_lo:[0,1] neg_hi:[0,1]
	v_mul_f32_e32 v14, 0x3fb8aa3b, v13
	v_mul_f32_e32 v15, 0x3fb8aa3b, v12
	v_fma_f32 v19, v13, s0, -v14
	v_rndne_f32_e32 v20, v14
	v_mul_f32_e32 v17, 0x3fb8aa3b, v11
	v_fma_f32 v21, v12, s0, -v15
	v_rndne_f32_e32 v22, v15
	v_fmac_f32_e32 v19, 0x32a5705f, v13
	v_sub_f32_e32 v14, v14, v20
	v_mul_f32_e32 v18, 0x3fb8aa3b, v10
	v_fma_f32 v23, v11, s0, -v17
	v_rndne_f32_e32 v24, v17
	v_fmac_f32_e32 v21, 0x32a5705f, v12
	v_sub_f32_e32 v15, v15, v22
	v_add_f32_e32 v14, v14, v19
	v_fma_f32 v25, v10, s0, -v18
	v_rndne_f32_e32 v26, v18
	v_cvt_i32_f32_e32 v20, v20
	v_fmac_f32_e32 v23, 0x32a5705f, v11
	v_sub_f32_e32 v17, v17, v24
	v_add_f32_e32 v15, v15, v21
	v_exp_f32_e32 v14, v14
	v_cvt_i32_f32_e32 v22, v22
	v_fmac_f32_e32 v25, 0x32a5705f, v10
	v_sub_f32_e32 v18, v18, v26
	v_add_f32_e32 v17, v17, v23
	v_exp_f32_e32 v15, v15
	v_cvt_i32_f32_e32 v24, v24
	v_add_f32_e32 v18, v18, v25
	v_exp_f32_e32 v17, v17
	v_cvt_i32_f32_e32 v26, v26
	v_exp_f32_e32 v18, v18
	v_ldexp_f32 v14, v14, v20
	v_cmp_ngt_f32_e32 vcc, s1, v13
	v_ldexp_f32 v15, v15, v22
	v_cndmask_b32_e32 v14, 0, v14, vcc
	v_cmp_ngt_f32_e32 vcc, s1, v12
	v_ldexp_f32 v17, v17, v24
	v_cndmask_b32_e32 v15, 0, v15, vcc
	v_cmp_ngt_f32_e32 vcc, s1, v11
	v_ldexp_f32 v18, v18, v26
	v_cndmask_b32_e32 v17, 0, v17, vcc
	v_cmp_ngt_f32_e32 vcc, s1, v10
	v_cndmask_b32_e32 v18, 0, v18, vcc
	v_cmp_nlt_f32_e32 vcc, s2, v13
	v_cndmask_b32_e32 v13, v16, v14, vcc
	v_cmp_nlt_f32_e32 vcc, s2, v12
	;; [unrolled: 2-line block ×4, first 2 shown]
	v_cndmask_b32_e32 v10, v16, v18, vcc
	v_add_f32_e32 v14, v10, v11
	v_add_f32_e32 v14, v14, v12
	;; [unrolled: 1-line block ×3, first 2 shown]
	ds_bpermute_b32 v15, v3, v14
	s_load_dwordx4 s[8:11], s[6:7], 0x30
	s_load_dwordx2 s[0:1], s[4:5], 0x4
	s_waitcnt lgkmcnt(0)
	s_mov_b32 s11, 0
	v_add_f32_e32 v14, v14, v15
	ds_bpermute_b32 v15, v4, v14
	s_lshr_b32 s0, s0, 16
	v_mul_u32_u24_e32 v9, s1, v9
	s_mul_i32 s0, s0, s1
	v_mad_u32_u24 v8, s0, v8, v9
	s_waitcnt lgkmcnt(0)
	v_add_f32_e32 v14, v14, v15
	ds_bpermute_b32 v15, v5, v14
	v_add_lshl_u32 v0, v8, v0, 4
	s_cmp_lt_i32 s8, 1
	s_waitcnt lgkmcnt(0)
	v_add_f32_e32 v14, v14, v15
	ds_bpermute_b32 v15, v6, v14
	s_waitcnt lgkmcnt(0)
	v_add_f32_e32 v14, v14, v15
	ds_bpermute_b32 v15, v7, v14
	s_waitcnt lgkmcnt(0)
	v_add_f32_e32 v9, v14, v15
	v_div_scale_f32 v14, s[0:1], v9, v9, 1.0
	v_rcp_f32_e32 v15, v14
	v_div_scale_f32 v8, vcc, 1.0, v9, 1.0
	v_fma_f32 v16, -v14, v15, 1.0
	v_fmac_f32_e32 v15, v16, v15
	v_mul_f32_e32 v16, v8, v15
	v_fma_f32 v17, -v14, v16, v8
	v_fmac_f32_e32 v16, v17, v15
	v_fma_f32 v8, -v14, v16, v8
	v_div_fmas_f32 v8, v8, v15, v16
	v_div_fixup_f32 v14, v8, v9, 1.0
	v_pk_mul_f32 v[8:9], v[14:15], v[10:11] op_sel_hi:[0,1]
	v_pk_mul_f32 v[10:11], v[14:15], v[12:13] op_sel_hi:[0,1]
	ds_write_b128 v0, v[8:11]
	s_cbranch_scc1 .LBB60_31
; %bb.5:
	s_load_dwordx4 s[4:7], s[6:7], 0x20
	v_lshlrev_b32_e32 v8, 2, v2
	v_cmp_eq_u32_e32 vcc, 0, v2
	v_mul_lo_u32 v9, v1, s8
	v_mov_b32_e32 v10, 0xc61c4000
	v_mov_b32_e32 v11, 0x80
	s_branch .LBB60_7
.LBB60_6:                               ;   in Loop: Header=BB60_7 Depth=1
	s_or_b64 exec, exec, s[0:1]
	s_cmp_lg_u32 s8, s11
	v_add_u32_e32 v1, s20, v1
	s_cbranch_scc0 .LBB60_31
.LBB60_7:                               ; =>This Inner Loop Header: Depth=1
	ds_read_b128 v[12:15], v0
	s_waitcnt lgkmcnt(0)
	v_cmp_gt_f32_e64 s[0:1], v13, v12
	v_cndmask_b32_e64 v12, v12, v13, s[0:1]
	v_cndmask_b32_e64 v13, 0, 1, s[0:1]
	v_cmp_gt_f32_e64 s[0:1], v14, v12
	v_cndmask_b32_e64 v12, v12, v14, s[0:1]
	v_cndmask_b32_e64 v14, v13, 2, s[0:1]
	;; [unrolled: 3-line block ×3, first 2 shown]
	ds_bpermute_b32 v14, v3, v13
	v_or_b32_e32 v12, v8, v12
	ds_bpermute_b32 v15, v3, v12
	s_waitcnt lgkmcnt(1)
	v_cmp_lt_f32_e64 s[16:17], v13, v14
	v_cmp_nlt_f32_e64 s[0:1], v13, v14
	s_and_saveexec_b64 s[18:19], s[0:1]
	s_cbranch_execz .LBB60_9
; %bb.8:                                ;   in Loop: Header=BB60_7 Depth=1
	v_cmp_eq_f32_e64 s[0:1], v13, v14
	s_waitcnt lgkmcnt(0)
	v_cmp_lt_i32_e64 s[2:3], v15, v12
	s_and_b64 s[0:1], s[0:1], s[2:3]
	s_andn2_b64 s[2:3], s[16:17], exec
	s_and_b64 s[0:1], s[0:1], exec
	s_or_b64 s[16:17], s[2:3], s[0:1]
.LBB60_9:                               ;   in Loop: Header=BB60_7 Depth=1
	s_or_b64 exec, exec, s[18:19]
	s_and_saveexec_b64 s[0:1], s[16:17]
	s_cbranch_execz .LBB60_11
; %bb.10:                               ;   in Loop: Header=BB60_7 Depth=1
	v_mov_b32_e32 v13, v14
	s_waitcnt lgkmcnt(0)
	v_mov_b32_e32 v12, v15
.LBB60_11:                              ;   in Loop: Header=BB60_7 Depth=1
	s_or_b64 exec, exec, s[0:1]
	s_waitcnt lgkmcnt(0)
	ds_bpermute_b32 v15, v4, v13
	ds_bpermute_b32 v14, v4, v12
	s_waitcnt lgkmcnt(1)
	v_cmp_lt_f32_e64 s[16:17], v13, v15
	v_cmp_nlt_f32_e64 s[0:1], v13, v15
	s_and_saveexec_b64 s[18:19], s[0:1]
	s_cbranch_execz .LBB60_13
; %bb.12:                               ;   in Loop: Header=BB60_7 Depth=1
	v_cmp_eq_f32_e64 s[0:1], v13, v15
	s_waitcnt lgkmcnt(0)
	v_cmp_lt_i32_e64 s[2:3], v14, v12
	s_and_b64 s[0:1], s[0:1], s[2:3]
	s_andn2_b64 s[2:3], s[16:17], exec
	s_and_b64 s[0:1], s[0:1], exec
	s_or_b64 s[16:17], s[2:3], s[0:1]
.LBB60_13:                              ;   in Loop: Header=BB60_7 Depth=1
	s_or_b64 exec, exec, s[18:19]
	s_and_saveexec_b64 s[0:1], s[16:17]
	s_cbranch_execz .LBB60_15
; %bb.14:                               ;   in Loop: Header=BB60_7 Depth=1
	v_mov_b32_e32 v13, v15
	s_waitcnt lgkmcnt(0)
	v_mov_b32_e32 v12, v14
.LBB60_15:                              ;   in Loop: Header=BB60_7 Depth=1
	s_or_b64 exec, exec, s[0:1]
	ds_bpermute_b32 v15, v5, v13
	s_waitcnt lgkmcnt(1)
	ds_bpermute_b32 v14, v5, v12
	s_waitcnt lgkmcnt(1)
	v_cmp_lt_f32_e64 s[16:17], v13, v15
	v_cmp_nlt_f32_e64 s[0:1], v13, v15
	s_and_saveexec_b64 s[18:19], s[0:1]
	s_cbranch_execz .LBB60_17
; %bb.16:                               ;   in Loop: Header=BB60_7 Depth=1
	v_cmp_eq_f32_e64 s[0:1], v13, v15
	s_waitcnt lgkmcnt(0)
	v_cmp_lt_i32_e64 s[2:3], v14, v12
	s_and_b64 s[0:1], s[0:1], s[2:3]
	s_andn2_b64 s[2:3], s[16:17], exec
	s_and_b64 s[0:1], s[0:1], exec
	s_or_b64 s[16:17], s[2:3], s[0:1]
.LBB60_17:                              ;   in Loop: Header=BB60_7 Depth=1
	s_or_b64 exec, exec, s[18:19]
	s_and_saveexec_b64 s[0:1], s[16:17]
	s_cbranch_execz .LBB60_19
; %bb.18:                               ;   in Loop: Header=BB60_7 Depth=1
	v_mov_b32_e32 v13, v15
	s_waitcnt lgkmcnt(0)
	v_mov_b32_e32 v12, v14
.LBB60_19:                              ;   in Loop: Header=BB60_7 Depth=1
	s_or_b64 exec, exec, s[0:1]
	ds_bpermute_b32 v15, v6, v13
	s_waitcnt lgkmcnt(1)
	ds_bpermute_b32 v14, v6, v12
	s_waitcnt lgkmcnt(1)
	v_cmp_lt_f32_e64 s[16:17], v13, v15
	v_cmp_nlt_f32_e64 s[0:1], v13, v15
	s_and_saveexec_b64 s[18:19], s[0:1]
	s_cbranch_execz .LBB60_21
; %bb.20:                               ;   in Loop: Header=BB60_7 Depth=1
	v_cmp_eq_f32_e64 s[0:1], v13, v15
	s_waitcnt lgkmcnt(0)
	v_cmp_lt_i32_e64 s[2:3], v14, v12
	s_and_b64 s[0:1], s[0:1], s[2:3]
	s_andn2_b64 s[2:3], s[16:17], exec
	s_and_b64 s[0:1], s[0:1], exec
	s_or_b64 s[16:17], s[2:3], s[0:1]
.LBB60_21:                              ;   in Loop: Header=BB60_7 Depth=1
	s_or_b64 exec, exec, s[18:19]
	s_and_saveexec_b64 s[0:1], s[16:17]
	s_cbranch_execz .LBB60_23
; %bb.22:                               ;   in Loop: Header=BB60_7 Depth=1
	v_mov_b32_e32 v13, v15
	s_waitcnt lgkmcnt(0)
	v_mov_b32_e32 v12, v14
.LBB60_23:                              ;   in Loop: Header=BB60_7 Depth=1
	s_or_b64 exec, exec, s[0:1]
	s_waitcnt lgkmcnt(0)
	ds_bpermute_b32 v14, v7, v13
	ds_bpermute_b32 v15, v7, v12
	s_waitcnt lgkmcnt(1)
	v_cmp_lt_f32_e64 s[16:17], v13, v14
	v_cmp_nlt_f32_e64 s[0:1], v13, v14
	s_and_saveexec_b64 s[18:19], s[0:1]
	s_cbranch_execnz .LBB60_29
; %bb.24:                               ;   in Loop: Header=BB60_7 Depth=1
	s_or_b64 exec, exec, s[18:19]
	s_and_saveexec_b64 s[0:1], s[16:17]
	s_cbranch_execnz .LBB60_30
.LBB60_25:                              ;   in Loop: Header=BB60_7 Depth=1
	s_or_b64 exec, exec, s[0:1]
	s_and_saveexec_b64 s[16:17], vcc
	s_cbranch_execz .LBB60_27
.LBB60_26:                              ;   in Loop: Header=BB60_7 Depth=1
	v_add_u32_e32 v14, s11, v9
	s_waitcnt lgkmcnt(0)
	v_ashrrev_i32_e32 v15, 31, v14
	v_cmp_le_i32_e64 s[0:1], s9, v12
	v_cmp_gt_i32_e64 s[2:3], s10, v12
	v_lshlrev_b64 v[16:17], 2, v[14:15]
	s_and_b64 s[2:3], s[0:1], s[2:3]
	v_mov_b32_e32 v19, s13
	v_add_co_u32_e64 v18, s[0:1], s12, v16
	v_addc_co_u32_e64 v19, s[0:1], v19, v17, s[0:1]
	global_store_dword v[18:19], v13, off
	v_subrev_u32_e32 v13, s9, v12
	v_ashrrev_i32_e32 v18, 31, v13
	s_and_b64 s[0:1], s[14:15], s[2:3]
	v_lshlrev_b64 v[14:15], 3, v[14:15]
	v_cndmask_b32_e64 v19, 0, v18, s[0:1]
	v_cndmask_b32_e64 v18, v11, v13, s[0:1]
	v_mov_b32_e32 v13, s5
	v_add_co_u32_e64 v14, s[0:1], s4, v14
	v_addc_co_u32_e64 v15, s[0:1], v13, v15, s[0:1]
	global_store_dwordx2 v[14:15], v[18:19], off
	v_mov_b32_e32 v13, s7
	v_add_co_u32_e64 v14, s[0:1], s6, v16
	v_addc_co_u32_e64 v15, s[0:1], v13, v17, s[0:1]
	global_store_dword v[14:15], v1, off
.LBB60_27:                              ;   in Loop: Header=BB60_7 Depth=1
	s_or_b64 exec, exec, s[16:17]
	v_ashrrev_i32_e32 v14, 31, v12
	v_lshrrev_b32_e32 v13, 30, v14
	s_waitcnt lgkmcnt(0)
	v_add_u32_e32 v15, v12, v13
	v_ashrrev_i32_e32 v13, 2, v15
	v_ashrrev_i32_e32 v15, 31, v15
	v_lshrrev_b32_e32 v15, 27, v15
	v_add_u32_e32 v15, v13, v15
	s_add_i32 s11, s11, 1
	v_and_b32_e32 v15, 0xffffffe0, v15
	s_cmp_lt_i32 s11, s8
	v_sub_u32_e32 v15, v13, v15
	s_cselect_b64 s[2:3], -1, 0
	v_cmp_eq_u32_e64 s[0:1], v2, v15
	s_and_b64 s[2:3], s[2:3], s[0:1]
	s_and_saveexec_b64 s[0:1], s[2:3]
	s_cbranch_execz .LBB60_6
; %bb.28:                               ;   in Loop: Header=BB60_7 Depth=1
	v_lshrrev_b32_e32 v14, 25, v14
	v_add_u32_e32 v14, v12, v14
	v_lshlrev_b32_e32 v13, 2, v13
	v_ashrrev_i32_e32 v14, 7, v14
	v_sub_u32_e32 v12, v12, v13
	v_lshl_add_u32 v12, v14, 2, v12
	v_lshl_add_u32 v12, v12, 2, v0
	ds_write_b32 v12, v10
	s_branch .LBB60_6
.LBB60_29:                              ;   in Loop: Header=BB60_7 Depth=1
	v_cmp_eq_f32_e64 s[0:1], v13, v14
	s_waitcnt lgkmcnt(0)
	v_cmp_lt_i32_e64 s[2:3], v15, v12
	s_and_b64 s[0:1], s[0:1], s[2:3]
	s_andn2_b64 s[2:3], s[16:17], exec
	s_and_b64 s[0:1], s[0:1], exec
	s_or_b64 s[16:17], s[2:3], s[0:1]
	s_or_b64 exec, exec, s[18:19]
	s_and_saveexec_b64 s[0:1], s[16:17]
	s_cbranch_execz .LBB60_25
.LBB60_30:                              ;   in Loop: Header=BB60_7 Depth=1
	v_mov_b32_e32 v13, v14
	s_waitcnt lgkmcnt(0)
	v_mov_b32_e32 v12, v15
	s_or_b64 exec, exec, s[0:1]
	s_and_saveexec_b64 s[16:17], vcc
	s_cbranch_execnz .LBB60_26
	s_branch .LBB60_27
.LBB60_31:
	s_endpgm
	.section	.rodata,"a",@progbits
	.p2align	6, 0x0
	.amdhsa_kernel _ZN4vllm3moe17topkGatingSoftmaxILi4ELi128ELi4ELi16ELi32ElEEvPKfPKbPfiPT4_Piiii
		.amdhsa_group_segment_fixed_size 2048
		.amdhsa_private_segment_fixed_size 0
		.amdhsa_kernarg_size 60
		.amdhsa_user_sgpr_count 8
		.amdhsa_user_sgpr_private_segment_buffer 1
		.amdhsa_user_sgpr_dispatch_ptr 1
		.amdhsa_user_sgpr_queue_ptr 0
		.amdhsa_user_sgpr_kernarg_segment_ptr 1
		.amdhsa_user_sgpr_dispatch_id 0
		.amdhsa_user_sgpr_flat_scratch_init 0
		.amdhsa_user_sgpr_kernarg_preload_length 0
		.amdhsa_user_sgpr_kernarg_preload_offset 0
		.amdhsa_user_sgpr_private_segment_size 0
		.amdhsa_uses_dynamic_stack 0
		.amdhsa_system_sgpr_private_segment_wavefront_offset 0
		.amdhsa_system_sgpr_workgroup_id_x 1
		.amdhsa_system_sgpr_workgroup_id_y 0
		.amdhsa_system_sgpr_workgroup_id_z 0
		.amdhsa_system_sgpr_workgroup_info 0
		.amdhsa_system_vgpr_workitem_id 2
		.amdhsa_next_free_vgpr 27
		.amdhsa_next_free_sgpr 21
		.amdhsa_accum_offset 28
		.amdhsa_reserve_vcc 1
		.amdhsa_reserve_flat_scratch 0
		.amdhsa_float_round_mode_32 0
		.amdhsa_float_round_mode_16_64 0
		.amdhsa_float_denorm_mode_32 3
		.amdhsa_float_denorm_mode_16_64 3
		.amdhsa_dx10_clamp 1
		.amdhsa_ieee_mode 1
		.amdhsa_fp16_overflow 0
		.amdhsa_tg_split 0
		.amdhsa_exception_fp_ieee_invalid_op 0
		.amdhsa_exception_fp_denorm_src 0
		.amdhsa_exception_fp_ieee_div_zero 0
		.amdhsa_exception_fp_ieee_overflow 0
		.amdhsa_exception_fp_ieee_underflow 0
		.amdhsa_exception_fp_ieee_inexact 0
		.amdhsa_exception_int_div_zero 0
	.end_amdhsa_kernel
	.section	.text._ZN4vllm3moe17topkGatingSoftmaxILi4ELi128ELi4ELi16ELi32ElEEvPKfPKbPfiPT4_Piiii,"axG",@progbits,_ZN4vllm3moe17topkGatingSoftmaxILi4ELi128ELi4ELi16ELi32ElEEvPKfPKbPfiPT4_Piiii,comdat
.Lfunc_end60:
	.size	_ZN4vllm3moe17topkGatingSoftmaxILi4ELi128ELi4ELi16ELi32ElEEvPKfPKbPfiPT4_Piiii, .Lfunc_end60-_ZN4vllm3moe17topkGatingSoftmaxILi4ELi128ELi4ELi16ELi32ElEEvPKfPKbPfiPT4_Piiii
                                        ; -- End function
	.section	.AMDGPU.csdata,"",@progbits
; Kernel info:
; codeLenInByte = 2024
; NumSgprs: 25
; NumVgprs: 27
; NumAgprs: 0
; TotalNumVgprs: 27
; ScratchSize: 0
; MemoryBound: 0
; FloatMode: 240
; IeeeMode: 1
; LDSByteSize: 2048 bytes/workgroup (compile time only)
; SGPRBlocks: 3
; VGPRBlocks: 3
; NumSGPRsForWavesPerEU: 25
; NumVGPRsForWavesPerEU: 27
; AccumOffset: 28
; Occupancy: 8
; WaveLimiterHint : 0
; COMPUTE_PGM_RSRC2:SCRATCH_EN: 0
; COMPUTE_PGM_RSRC2:USER_SGPR: 8
; COMPUTE_PGM_RSRC2:TRAP_HANDLER: 0
; COMPUTE_PGM_RSRC2:TGID_X_EN: 1
; COMPUTE_PGM_RSRC2:TGID_Y_EN: 0
; COMPUTE_PGM_RSRC2:TGID_Z_EN: 0
; COMPUTE_PGM_RSRC2:TIDIG_COMP_CNT: 2
; COMPUTE_PGM_RSRC3_GFX90A:ACCUM_OFFSET: 6
; COMPUTE_PGM_RSRC3_GFX90A:TG_SPLIT: 0
	.section	.text._ZN4vllm3moe17topkGatingSoftmaxILi4ELi256ELi4ELi16ELi64ElEEvPKfPKbPfiPT4_Piiii,"axG",@progbits,_ZN4vllm3moe17topkGatingSoftmaxILi4ELi256ELi4ELi16ELi64ElEEvPKfPKbPfiPT4_Piiii,comdat
	.protected	_ZN4vllm3moe17topkGatingSoftmaxILi4ELi256ELi4ELi16ELi64ElEEvPKfPKbPfiPT4_Piiii ; -- Begin function _ZN4vllm3moe17topkGatingSoftmaxILi4ELi256ELi4ELi16ELi64ElEEvPKfPKbPfiPT4_Piiii
	.globl	_ZN4vllm3moe17topkGatingSoftmaxILi4ELi256ELi4ELi16ELi64ElEEvPKfPKbPfiPT4_Piiii
	.p2align	8
	.type	_ZN4vllm3moe17topkGatingSoftmaxILi4ELi256ELi4ELi16ELi64ElEEvPKfPKbPfiPT4_Piiii,@function
_ZN4vllm3moe17topkGatingSoftmaxILi4ELi256ELi4ELi16ELi64ElEEvPKfPKbPfiPT4_Piiii: ; @_ZN4vllm3moe17topkGatingSoftmaxILi4ELi256ELi4ELi16ELi64ElEEvPKfPKbPfiPT4_Piiii
; %bb.0:
	s_load_dword s20, s[6:7], 0x18
	v_and_b32_e32 v9, 0x3ff, v0
	v_bfe_u32 v10, v0, 10, 10
	s_lshl_b32 s0, s8, 2
	v_lshrrev_b32_e32 v1, 6, v9
	v_add3_u32 v1, s0, v10, v1
	s_waitcnt lgkmcnt(0)
	v_cmp_gt_i32_e32 vcc, s20, v1
	s_and_saveexec_b64 s[0:1], vcc
	s_cbranch_execz .LBB61_35
; %bb.1:
	s_load_dwordx4 s[0:3], s[6:7], 0x0
	s_load_dwordx2 s[12:13], s[6:7], 0x10
	s_waitcnt lgkmcnt(0)
	s_cmp_eq_u64 s[2:3], 0
	s_cbranch_scc1 .LBB61_3
; %bb.2:
	v_ashrrev_i32_e32 v3, 31, v1
	v_mov_b32_e32 v4, s3
	v_add_co_u32_e32 v2, vcc, s2, v1
	v_addc_co_u32_e32 v3, vcc, v4, v3, vcc
	global_load_ubyte v2, v[2:3], off
	s_waitcnt vmcnt(0)
	v_and_b32_e32 v2, 1, v2
	v_cmp_eq_u32_e32 vcc, 1, v2
	s_xor_b64 s[2:3], vcc, -1
	s_orn2_b64 s[14:15], s[2:3], exec
	s_branch .LBB61_4
.LBB61_3:
	s_mov_b64 s[14:15], -1
.LBB61_4:
	v_lshlrev_b32_e32 v2, 8, v1
	v_ashrrev_i32_e32 v3, 31, v2
	v_lshlrev_b64 v[2:3], 2, v[2:3]
	v_mov_b32_e32 v4, s1
	v_add_co_u32_e32 v5, vcc, s0, v2
	v_and_b32_e32 v2, 63, v9
	v_addc_co_u32_e32 v3, vcc, v4, v3, vcc
	v_lshlrev_b32_e32 v4, 4, v2
	v_add_co_u32_e32 v4, vcc, v5, v4
	v_addc_co_u32_e32 v5, vcc, 0, v3, vcc
	global_load_dwordx4 v[12:15], v[4:5], off
	v_mbcnt_lo_u32_b32 v3, -1, 0
	v_mbcnt_hi_u32_b32 v8, -1, v3
	v_and_b32_e32 v3, 64, v8
	v_xor_b32_e32 v4, 32, v8
	v_add_u32_e32 v11, 64, v3
	v_cmp_lt_i32_e32 vcc, v4, v11
	v_cndmask_b32_e32 v3, v8, v4, vcc
	v_lshlrev_b32_e32 v3, 2, v3
	v_xor_b32_e32 v18, 1, v8
	s_mov_b32 s0, 0x3fb8aa3b
	s_mov_b32 s1, 0xc2ce8ed0
	;; [unrolled: 1-line block ×3, first 2 shown]
	v_bfe_u32 v0, v0, 20, 10
	s_waitcnt vmcnt(0)
	v_max_f32_e32 v4, v13, v13
	v_max_f32_e32 v5, v12, v12
	;; [unrolled: 1-line block ×3, first 2 shown]
	v_max3_f32 v5, v4, v14, v15
	ds_bpermute_b32 v6, v3, v5
	v_xor_b32_e32 v4, 16, v8
	v_cmp_lt_i32_e32 vcc, v4, v11
	v_cndmask_b32_e32 v4, v8, v4, vcc
	v_lshlrev_b32_e32 v4, 2, v4
	s_waitcnt lgkmcnt(0)
	v_max_f32_e32 v6, v6, v6
	v_max_f32_e32 v6, v5, v6
	ds_bpermute_b32 v7, v4, v6
	v_xor_b32_e32 v5, 8, v8
	v_cmp_lt_i32_e32 vcc, v5, v11
	v_cndmask_b32_e32 v5, v8, v5, vcc
	v_lshlrev_b32_e32 v5, 2, v5
	s_waitcnt lgkmcnt(0)
	v_max_f32_e32 v7, v7, v7
	v_max_f32_e32 v7, v6, v7
	;; [unrolled: 8-line block ×4, first 2 shown]
	ds_bpermute_b32 v17, v7, v16
	v_cmp_lt_i32_e32 vcc, v18, v11
	v_cndmask_b32_e32 v8, v8, v18, vcc
	v_lshlrev_b32_e32 v8, 2, v8
	s_waitcnt lgkmcnt(0)
	v_max_f32_e32 v11, v17, v17
	v_max_f32_e32 v11, v16, v11
	ds_bpermute_b32 v16, v8, v11
	v_mov_b32_e32 v17, 0x7f800000
	s_waitcnt lgkmcnt(0)
	v_max_f32_e32 v16, v16, v16
	v_max_f32_e32 v16, v11, v16
	v_pk_add_f32 v[14:15], v[14:15], v[16:17] op_sel_hi:[1,0] neg_lo:[0,1] neg_hi:[0,1]
	v_mul_f32_e32 v11, 0x3fb8aa3b, v15
	v_pk_add_f32 v[12:13], v[12:13], v[16:17] op_sel_hi:[1,0] neg_lo:[0,1] neg_hi:[0,1]
	v_mul_f32_e32 v16, 0x3fb8aa3b, v14
	v_fma_f32 v20, v15, s0, -v11
	v_rndne_f32_e32 v21, v11
	v_mul_f32_e32 v18, 0x3fb8aa3b, v13
	v_fma_f32 v22, v14, s0, -v16
	v_rndne_f32_e32 v23, v16
	v_fmac_f32_e32 v20, 0x32a5705f, v15
	v_sub_f32_e32 v11, v11, v21
	v_mul_f32_e32 v19, 0x3fb8aa3b, v12
	v_fma_f32 v24, v13, s0, -v18
	v_rndne_f32_e32 v25, v18
	v_fmac_f32_e32 v22, 0x32a5705f, v14
	v_sub_f32_e32 v16, v16, v23
	v_add_f32_e32 v11, v11, v20
	v_fma_f32 v26, v12, s0, -v19
	v_rndne_f32_e32 v27, v19
	v_cvt_i32_f32_e32 v21, v21
	v_fmac_f32_e32 v24, 0x32a5705f, v13
	v_sub_f32_e32 v18, v18, v25
	v_add_f32_e32 v16, v16, v22
	v_exp_f32_e32 v11, v11
	v_cvt_i32_f32_e32 v23, v23
	v_fmac_f32_e32 v26, 0x32a5705f, v12
	v_sub_f32_e32 v19, v19, v27
	v_add_f32_e32 v18, v18, v24
	v_exp_f32_e32 v16, v16
	v_cvt_i32_f32_e32 v25, v25
	v_add_f32_e32 v19, v19, v26
	v_exp_f32_e32 v18, v18
	v_cvt_i32_f32_e32 v27, v27
	v_exp_f32_e32 v19, v19
	v_ldexp_f32 v11, v11, v21
	v_cmp_ngt_f32_e32 vcc, s1, v15
	v_ldexp_f32 v16, v16, v23
	v_cndmask_b32_e32 v11, 0, v11, vcc
	v_cmp_ngt_f32_e32 vcc, s1, v14
	v_ldexp_f32 v18, v18, v25
	v_cndmask_b32_e32 v16, 0, v16, vcc
	;; [unrolled: 3-line block ×3, first 2 shown]
	v_cmp_ngt_f32_e32 vcc, s1, v12
	v_cndmask_b32_e32 v19, 0, v19, vcc
	v_cmp_nlt_f32_e32 vcc, s2, v15
	v_cndmask_b32_e32 v15, v17, v11, vcc
	v_cmp_nlt_f32_e32 vcc, s2, v14
	;; [unrolled: 2-line block ×4, first 2 shown]
	v_cndmask_b32_e32 v12, v17, v19, vcc
	v_add_f32_e32 v11, v12, v13
	v_add_f32_e32 v11, v11, v14
	;; [unrolled: 1-line block ×3, first 2 shown]
	ds_bpermute_b32 v16, v3, v11
	s_load_dwordx4 s[8:11], s[6:7], 0x30
	s_load_dwordx2 s[0:1], s[4:5], 0x4
	s_waitcnt lgkmcnt(0)
	s_mov_b32 s11, 0
	v_add_f32_e32 v11, v11, v16
	ds_bpermute_b32 v16, v4, v11
	s_lshr_b32 s0, s0, 16
	s_mul_i32 s0, s0, s1
	v_mul_lo_u32 v9, s0, v9
	v_mad_u32_u24 v9, v10, s1, v9
	s_waitcnt lgkmcnt(0)
	v_add_f32_e32 v11, v11, v16
	ds_bpermute_b32 v16, v5, v11
	v_add_lshl_u32 v0, v9, v0, 4
	s_cmp_lt_i32 s8, 1
	s_waitcnt lgkmcnt(0)
	v_add_f32_e32 v11, v11, v16
	ds_bpermute_b32 v16, v6, v11
	s_waitcnt lgkmcnt(0)
	v_add_f32_e32 v11, v11, v16
	ds_bpermute_b32 v16, v7, v11
	;; [unrolled: 3-line block ×3, first 2 shown]
	s_waitcnt lgkmcnt(0)
	v_add_f32_e32 v10, v11, v16
	v_div_scale_f32 v11, s[0:1], v10, v10, 1.0
	v_rcp_f32_e32 v16, v11
	v_div_scale_f32 v9, vcc, 1.0, v10, 1.0
	v_fma_f32 v17, -v11, v16, 1.0
	v_fmac_f32_e32 v16, v17, v16
	v_mul_f32_e32 v17, v9, v16
	v_fma_f32 v18, -v11, v17, v9
	v_fmac_f32_e32 v17, v18, v16
	v_fma_f32 v9, -v11, v17, v9
	v_div_fmas_f32 v9, v9, v16, v17
	v_div_fixup_f32 v16, v9, v10, 1.0
	v_pk_mul_f32 v[10:11], v[16:17], v[12:13] op_sel_hi:[0,1]
	v_pk_mul_f32 v[12:13], v[16:17], v[14:15] op_sel_hi:[0,1]
	ds_write_b128 v0, v[10:13]
	s_cbranch_scc1 .LBB61_35
; %bb.5:
	s_load_dwordx4 s[4:7], s[6:7], 0x20
	v_lshlrev_b32_e32 v9, 2, v2
	v_cmp_eq_u32_e32 vcc, 0, v2
	v_mul_lo_u32 v10, v1, s8
	v_mov_b32_e32 v11, 0xc61c4000
	v_mov_b32_e32 v12, 0x100
	s_branch .LBB61_7
.LBB61_6:                               ;   in Loop: Header=BB61_7 Depth=1
	s_or_b64 exec, exec, s[0:1]
	s_cmp_lg_u32 s8, s11
	v_add_u32_e32 v1, s20, v1
	s_cbranch_scc0 .LBB61_35
.LBB61_7:                               ; =>This Inner Loop Header: Depth=1
	ds_read_b128 v[14:17], v0
	s_waitcnt lgkmcnt(0)
	v_cmp_gt_f32_e64 s[0:1], v15, v14
	v_cndmask_b32_e64 v13, v14, v15, s[0:1]
	v_cndmask_b32_e64 v14, 0, 1, s[0:1]
	v_cmp_gt_f32_e64 s[0:1], v16, v13
	v_cndmask_b32_e64 v13, v13, v16, s[0:1]
	v_cndmask_b32_e64 v15, v14, 2, s[0:1]
	;; [unrolled: 3-line block ×3, first 2 shown]
	ds_bpermute_b32 v15, v3, v14
	v_or_b32_e32 v13, v9, v13
	ds_bpermute_b32 v16, v3, v13
	s_waitcnt lgkmcnt(1)
	v_cmp_lt_f32_e64 s[16:17], v14, v15
	v_cmp_nlt_f32_e64 s[0:1], v14, v15
	s_and_saveexec_b64 s[18:19], s[0:1]
	s_cbranch_execz .LBB61_9
; %bb.8:                                ;   in Loop: Header=BB61_7 Depth=1
	v_cmp_eq_f32_e64 s[0:1], v14, v15
	s_waitcnt lgkmcnt(0)
	v_cmp_lt_i32_e64 s[2:3], v16, v13
	s_and_b64 s[0:1], s[0:1], s[2:3]
	s_andn2_b64 s[2:3], s[16:17], exec
	s_and_b64 s[0:1], s[0:1], exec
	s_or_b64 s[16:17], s[2:3], s[0:1]
.LBB61_9:                               ;   in Loop: Header=BB61_7 Depth=1
	s_or_b64 exec, exec, s[18:19]
	s_and_saveexec_b64 s[0:1], s[16:17]
	s_cbranch_execz .LBB61_11
; %bb.10:                               ;   in Loop: Header=BB61_7 Depth=1
	v_mov_b32_e32 v14, v15
	s_waitcnt lgkmcnt(0)
	v_mov_b32_e32 v13, v16
.LBB61_11:                              ;   in Loop: Header=BB61_7 Depth=1
	s_or_b64 exec, exec, s[0:1]
	s_waitcnt lgkmcnt(0)
	ds_bpermute_b32 v16, v4, v14
	ds_bpermute_b32 v15, v4, v13
	s_waitcnt lgkmcnt(1)
	v_cmp_lt_f32_e64 s[16:17], v14, v16
	v_cmp_nlt_f32_e64 s[0:1], v14, v16
	s_and_saveexec_b64 s[18:19], s[0:1]
	s_cbranch_execz .LBB61_13
; %bb.12:                               ;   in Loop: Header=BB61_7 Depth=1
	v_cmp_eq_f32_e64 s[0:1], v14, v16
	s_waitcnt lgkmcnt(0)
	v_cmp_lt_i32_e64 s[2:3], v15, v13
	s_and_b64 s[0:1], s[0:1], s[2:3]
	s_andn2_b64 s[2:3], s[16:17], exec
	s_and_b64 s[0:1], s[0:1], exec
	s_or_b64 s[16:17], s[2:3], s[0:1]
.LBB61_13:                              ;   in Loop: Header=BB61_7 Depth=1
	s_or_b64 exec, exec, s[18:19]
	s_and_saveexec_b64 s[0:1], s[16:17]
	s_cbranch_execz .LBB61_15
; %bb.14:                               ;   in Loop: Header=BB61_7 Depth=1
	v_mov_b32_e32 v14, v16
	s_waitcnt lgkmcnt(0)
	v_mov_b32_e32 v13, v15
.LBB61_15:                              ;   in Loop: Header=BB61_7 Depth=1
	s_or_b64 exec, exec, s[0:1]
	ds_bpermute_b32 v16, v5, v14
	s_waitcnt lgkmcnt(1)
	ds_bpermute_b32 v15, v5, v13
	s_waitcnt lgkmcnt(1)
	v_cmp_lt_f32_e64 s[16:17], v14, v16
	v_cmp_nlt_f32_e64 s[0:1], v14, v16
	s_and_saveexec_b64 s[18:19], s[0:1]
	s_cbranch_execz .LBB61_17
; %bb.16:                               ;   in Loop: Header=BB61_7 Depth=1
	v_cmp_eq_f32_e64 s[0:1], v14, v16
	s_waitcnt lgkmcnt(0)
	v_cmp_lt_i32_e64 s[2:3], v15, v13
	s_and_b64 s[0:1], s[0:1], s[2:3]
	s_andn2_b64 s[2:3], s[16:17], exec
	s_and_b64 s[0:1], s[0:1], exec
	s_or_b64 s[16:17], s[2:3], s[0:1]
.LBB61_17:                              ;   in Loop: Header=BB61_7 Depth=1
	s_or_b64 exec, exec, s[18:19]
	s_and_saveexec_b64 s[0:1], s[16:17]
	s_cbranch_execz .LBB61_19
; %bb.18:                               ;   in Loop: Header=BB61_7 Depth=1
	v_mov_b32_e32 v14, v16
	s_waitcnt lgkmcnt(0)
	v_mov_b32_e32 v13, v15
.LBB61_19:                              ;   in Loop: Header=BB61_7 Depth=1
	s_or_b64 exec, exec, s[0:1]
	ds_bpermute_b32 v16, v6, v14
	s_waitcnt lgkmcnt(1)
	;; [unrolled: 26-line block ×3, first 2 shown]
	ds_bpermute_b32 v15, v7, v13
	s_waitcnt lgkmcnt(1)
	v_cmp_lt_f32_e64 s[16:17], v14, v16
	v_cmp_nlt_f32_e64 s[0:1], v14, v16
	s_and_saveexec_b64 s[18:19], s[0:1]
	s_cbranch_execz .LBB61_25
; %bb.24:                               ;   in Loop: Header=BB61_7 Depth=1
	v_cmp_eq_f32_e64 s[0:1], v14, v16
	s_waitcnt lgkmcnt(0)
	v_cmp_lt_i32_e64 s[2:3], v15, v13
	s_and_b64 s[0:1], s[0:1], s[2:3]
	s_andn2_b64 s[2:3], s[16:17], exec
	s_and_b64 s[0:1], s[0:1], exec
	s_or_b64 s[16:17], s[2:3], s[0:1]
.LBB61_25:                              ;   in Loop: Header=BB61_7 Depth=1
	s_or_b64 exec, exec, s[18:19]
	s_and_saveexec_b64 s[0:1], s[16:17]
	s_cbranch_execz .LBB61_27
; %bb.26:                               ;   in Loop: Header=BB61_7 Depth=1
	v_mov_b32_e32 v14, v16
	s_waitcnt lgkmcnt(0)
	v_mov_b32_e32 v13, v15
.LBB61_27:                              ;   in Loop: Header=BB61_7 Depth=1
	s_or_b64 exec, exec, s[0:1]
	s_waitcnt lgkmcnt(0)
	ds_bpermute_b32 v15, v8, v14
	ds_bpermute_b32 v16, v8, v13
	s_waitcnt lgkmcnt(1)
	v_cmp_lt_f32_e64 s[16:17], v14, v15
	v_cmp_nlt_f32_e64 s[0:1], v14, v15
	s_and_saveexec_b64 s[18:19], s[0:1]
	s_cbranch_execnz .LBB61_33
; %bb.28:                               ;   in Loop: Header=BB61_7 Depth=1
	s_or_b64 exec, exec, s[18:19]
	s_and_saveexec_b64 s[0:1], s[16:17]
	s_cbranch_execnz .LBB61_34
.LBB61_29:                              ;   in Loop: Header=BB61_7 Depth=1
	s_or_b64 exec, exec, s[0:1]
	s_and_saveexec_b64 s[16:17], vcc
	s_cbranch_execz .LBB61_31
.LBB61_30:                              ;   in Loop: Header=BB61_7 Depth=1
	s_waitcnt lgkmcnt(0)
	v_add_u32_e32 v16, s11, v10
	v_ashrrev_i32_e32 v17, 31, v16
	v_cmp_le_i32_e64 s[0:1], s9, v13
	v_cmp_gt_i32_e64 s[2:3], s10, v13
	v_lshlrev_b64 v[18:19], 2, v[16:17]
	s_and_b64 s[2:3], s[0:1], s[2:3]
	v_mov_b32_e32 v15, s13
	v_add_co_u32_e64 v20, s[0:1], s12, v18
	v_addc_co_u32_e64 v21, s[0:1], v15, v19, s[0:1]
	global_store_dword v[20:21], v14, off
	v_subrev_u32_e32 v14, s9, v13
	v_ashrrev_i32_e32 v15, 31, v14
	s_and_b64 s[0:1], s[14:15], s[2:3]
	v_lshlrev_b64 v[16:17], 3, v[16:17]
	v_cndmask_b32_e64 v15, 0, v15, s[0:1]
	v_cndmask_b32_e64 v14, v12, v14, s[0:1]
	v_mov_b32_e32 v20, s5
	v_add_co_u32_e64 v16, s[0:1], s4, v16
	v_addc_co_u32_e64 v17, s[0:1], v20, v17, s[0:1]
	global_store_dwordx2 v[16:17], v[14:15], off
	v_mov_b32_e32 v15, s7
	v_add_co_u32_e64 v14, s[0:1], s6, v18
	v_addc_co_u32_e64 v15, s[0:1], v15, v19, s[0:1]
	global_store_dword v[14:15], v1, off
.LBB61_31:                              ;   in Loop: Header=BB61_7 Depth=1
	s_or_b64 exec, exec, s[16:17]
	v_ashrrev_i32_e32 v14, 31, v13
	v_lshrrev_b32_e32 v15, 30, v14
	s_waitcnt lgkmcnt(0)
	v_add_u32_e32 v16, v13, v15
	v_ashrrev_i32_e32 v15, 2, v16
	v_ashrrev_i32_e32 v16, 31, v16
	v_lshrrev_b32_e32 v16, 26, v16
	v_add_u32_e32 v16, v15, v16
	s_add_i32 s11, s11, 1
	v_and_b32_e32 v16, 0xffffffc0, v16
	s_cmp_lt_i32 s11, s8
	v_sub_u32_e32 v16, v15, v16
	s_cselect_b64 s[2:3], -1, 0
	v_cmp_eq_u32_e64 s[0:1], v2, v16
	s_and_b64 s[2:3], s[2:3], s[0:1]
	s_and_saveexec_b64 s[0:1], s[2:3]
	s_cbranch_execz .LBB61_6
; %bb.32:                               ;   in Loop: Header=BB61_7 Depth=1
	v_add_u32_sdwa v14, v13, v14 dst_sel:DWORD dst_unused:UNUSED_PAD src0_sel:DWORD src1_sel:BYTE_3
	v_lshlrev_b32_e32 v15, 2, v15
	v_ashrrev_i32_e32 v14, 8, v14
	v_sub_u32_e32 v13, v13, v15
	v_lshl_add_u32 v13, v14, 2, v13
	v_lshl_add_u32 v13, v13, 2, v0
	ds_write_b32 v13, v11
	s_branch .LBB61_6
.LBB61_33:                              ;   in Loop: Header=BB61_7 Depth=1
	v_cmp_eq_f32_e64 s[0:1], v14, v15
	s_waitcnt lgkmcnt(0)
	v_cmp_lt_i32_e64 s[2:3], v16, v13
	s_and_b64 s[0:1], s[0:1], s[2:3]
	s_andn2_b64 s[2:3], s[16:17], exec
	s_and_b64 s[0:1], s[0:1], exec
	s_or_b64 s[16:17], s[2:3], s[0:1]
	s_or_b64 exec, exec, s[18:19]
	s_and_saveexec_b64 s[0:1], s[16:17]
	s_cbranch_execz .LBB61_29
.LBB61_34:                              ;   in Loop: Header=BB61_7 Depth=1
	v_mov_b32_e32 v14, v15
	s_waitcnt lgkmcnt(0)
	v_mov_b32_e32 v13, v16
	s_or_b64 exec, exec, s[0:1]
	s_and_saveexec_b64 s[16:17], vcc
	s_cbranch_execnz .LBB61_30
	s_branch .LBB61_31
.LBB61_35:
	s_endpgm
	.section	.rodata,"a",@progbits
	.p2align	6, 0x0
	.amdhsa_kernel _ZN4vllm3moe17topkGatingSoftmaxILi4ELi256ELi4ELi16ELi64ElEEvPKfPKbPfiPT4_Piiii
		.amdhsa_group_segment_fixed_size 4096
		.amdhsa_private_segment_fixed_size 0
		.amdhsa_kernarg_size 60
		.amdhsa_user_sgpr_count 8
		.amdhsa_user_sgpr_private_segment_buffer 1
		.amdhsa_user_sgpr_dispatch_ptr 1
		.amdhsa_user_sgpr_queue_ptr 0
		.amdhsa_user_sgpr_kernarg_segment_ptr 1
		.amdhsa_user_sgpr_dispatch_id 0
		.amdhsa_user_sgpr_flat_scratch_init 0
		.amdhsa_user_sgpr_kernarg_preload_length 0
		.amdhsa_user_sgpr_kernarg_preload_offset 0
		.amdhsa_user_sgpr_private_segment_size 0
		.amdhsa_uses_dynamic_stack 0
		.amdhsa_system_sgpr_private_segment_wavefront_offset 0
		.amdhsa_system_sgpr_workgroup_id_x 1
		.amdhsa_system_sgpr_workgroup_id_y 0
		.amdhsa_system_sgpr_workgroup_id_z 0
		.amdhsa_system_sgpr_workgroup_info 0
		.amdhsa_system_vgpr_workitem_id 2
		.amdhsa_next_free_vgpr 28
		.amdhsa_next_free_sgpr 21
		.amdhsa_accum_offset 28
		.amdhsa_reserve_vcc 1
		.amdhsa_reserve_flat_scratch 0
		.amdhsa_float_round_mode_32 0
		.amdhsa_float_round_mode_16_64 0
		.amdhsa_float_denorm_mode_32 3
		.amdhsa_float_denorm_mode_16_64 3
		.amdhsa_dx10_clamp 1
		.amdhsa_ieee_mode 1
		.amdhsa_fp16_overflow 0
		.amdhsa_tg_split 0
		.amdhsa_exception_fp_ieee_invalid_op 0
		.amdhsa_exception_fp_denorm_src 0
		.amdhsa_exception_fp_ieee_div_zero 0
		.amdhsa_exception_fp_ieee_overflow 0
		.amdhsa_exception_fp_ieee_underflow 0
		.amdhsa_exception_fp_ieee_inexact 0
		.amdhsa_exception_int_div_zero 0
	.end_amdhsa_kernel
	.section	.text._ZN4vllm3moe17topkGatingSoftmaxILi4ELi256ELi4ELi16ELi64ElEEvPKfPKbPfiPT4_Piiii,"axG",@progbits,_ZN4vllm3moe17topkGatingSoftmaxILi4ELi256ELi4ELi16ELi64ElEEvPKfPKbPfiPT4_Piiii,comdat
.Lfunc_end61:
	.size	_ZN4vllm3moe17topkGatingSoftmaxILi4ELi256ELi4ELi16ELi64ElEEvPKfPKbPfiPT4_Piiii, .Lfunc_end61-_ZN4vllm3moe17topkGatingSoftmaxILi4ELi256ELi4ELi16ELi64ElEEvPKfPKbPfiPT4_Piiii
                                        ; -- End function
	.section	.AMDGPU.csdata,"",@progbits
; Kernel info:
; codeLenInByte = 2188
; NumSgprs: 25
; NumVgprs: 28
; NumAgprs: 0
; TotalNumVgprs: 28
; ScratchSize: 0
; MemoryBound: 0
; FloatMode: 240
; IeeeMode: 1
; LDSByteSize: 4096 bytes/workgroup (compile time only)
; SGPRBlocks: 3
; VGPRBlocks: 3
; NumSGPRsForWavesPerEU: 25
; NumVGPRsForWavesPerEU: 28
; AccumOffset: 28
; Occupancy: 8
; WaveLimiterHint : 0
; COMPUTE_PGM_RSRC2:SCRATCH_EN: 0
; COMPUTE_PGM_RSRC2:USER_SGPR: 8
; COMPUTE_PGM_RSRC2:TRAP_HANDLER: 0
; COMPUTE_PGM_RSRC2:TGID_X_EN: 1
; COMPUTE_PGM_RSRC2:TGID_Y_EN: 0
; COMPUTE_PGM_RSRC2:TGID_Z_EN: 0
; COMPUTE_PGM_RSRC2:TIDIG_COMP_CNT: 2
; COMPUTE_PGM_RSRC3_GFX90A:ACCUM_OFFSET: 6
; COMPUTE_PGM_RSRC3_GFX90A:TG_SPLIT: 0
	.section	.text._ZN4vllm3moe17topkGatingSoftmaxILi8ELi256ELi4ELi16ELi32ElEEvPKfPKbPfiPT4_Piiii,"axG",@progbits,_ZN4vllm3moe17topkGatingSoftmaxILi8ELi256ELi4ELi16ELi32ElEEvPKfPKbPfiPT4_Piiii,comdat
	.protected	_ZN4vllm3moe17topkGatingSoftmaxILi8ELi256ELi4ELi16ELi32ElEEvPKfPKbPfiPT4_Piiii ; -- Begin function _ZN4vllm3moe17topkGatingSoftmaxILi8ELi256ELi4ELi16ELi32ElEEvPKfPKbPfiPT4_Piiii
	.globl	_ZN4vllm3moe17topkGatingSoftmaxILi8ELi256ELi4ELi16ELi32ElEEvPKfPKbPfiPT4_Piiii
	.p2align	8
	.type	_ZN4vllm3moe17topkGatingSoftmaxILi8ELi256ELi4ELi16ELi32ElEEvPKfPKbPfiPT4_Piiii,@function
_ZN4vllm3moe17topkGatingSoftmaxILi8ELi256ELi4ELi16ELi32ElEEvPKfPKbPfiPT4_Piiii: ; @_ZN4vllm3moe17topkGatingSoftmaxILi8ELi256ELi4ELi16ELi32ElEEvPKfPKbPfiPT4_Piiii
; %bb.0:
	s_load_dword s20, s[6:7], 0x18
	v_and_b32_e32 v8, 0x3ff, v0
	v_bfe_u32 v9, v0, 10, 10
	s_lshl_b32 s0, s8, 2
	v_lshrrev_b32_e32 v1, 5, v8
	v_add3_u32 v1, s0, v9, v1
	s_waitcnt lgkmcnt(0)
	v_cmp_gt_i32_e32 vcc, s20, v1
	s_and_saveexec_b64 s[0:1], vcc
	s_cbranch_execz .LBB62_31
; %bb.1:
	s_load_dwordx4 s[0:3], s[6:7], 0x0
	s_load_dwordx2 s[12:13], s[6:7], 0x10
	s_waitcnt lgkmcnt(0)
	s_cmp_eq_u64 s[2:3], 0
	s_cbranch_scc1 .LBB62_3
; %bb.2:
	v_ashrrev_i32_e32 v3, 31, v1
	v_mov_b32_e32 v4, s3
	v_add_co_u32_e32 v2, vcc, s2, v1
	v_addc_co_u32_e32 v3, vcc, v4, v3, vcc
	global_load_ubyte v2, v[2:3], off
	s_waitcnt vmcnt(0)
	v_and_b32_e32 v2, 1, v2
	v_cmp_eq_u32_e32 vcc, 1, v2
	s_xor_b64 s[2:3], vcc, -1
	s_orn2_b64 s[14:15], s[2:3], exec
	s_branch .LBB62_4
.LBB62_3:
	s_mov_b64 s[14:15], -1
.LBB62_4:
	v_lshlrev_b32_e32 v2, 8, v1
	v_ashrrev_i32_e32 v3, 31, v2
	v_lshlrev_b64 v[2:3], 2, v[2:3]
	v_mov_b32_e32 v4, s1
	v_add_co_u32_e32 v5, vcc, s0, v2
	v_and_b32_e32 v2, 31, v8
	v_addc_co_u32_e32 v3, vcc, v4, v3, vcc
	v_lshlrev_b32_e32 v4, 4, v2
	v_add_co_u32_e32 v4, vcc, v5, v4
	v_addc_co_u32_e32 v5, vcc, 0, v3, vcc
	global_load_dwordx4 v[10:13], v[4:5], off
	global_load_dwordx4 v[14:17], v[4:5], off offset:512
	v_mbcnt_lo_u32_b32 v3, -1, 0
	v_mbcnt_hi_u32_b32 v7, -1, v3
	v_and_b32_e32 v3, 0x60, v7
	v_xor_b32_e32 v4, 16, v7
	v_add_u32_e32 v18, 32, v3
	v_cmp_lt_i32_e32 vcc, v4, v18
	v_cndmask_b32_e32 v3, v7, v4, vcc
	v_lshlrev_b32_e32 v3, 2, v3
	v_xor_b32_e32 v21, 1, v7
	s_mov_b32 s0, 0x3fb8aa3b
	s_mov_b32 s1, 0xc2ce8ed0
	;; [unrolled: 1-line block ×3, first 2 shown]
	v_bfe_u32 v0, v0, 20, 10
	s_waitcnt vmcnt(1)
	v_max_f32_e32 v4, v11, v11
	v_max_f32_e32 v5, v10, v10
	;; [unrolled: 1-line block ×3, first 2 shown]
	v_max3_f32 v4, v4, v12, v13
	s_waitcnt vmcnt(0)
	v_max3_f32 v4, v4, v14, v15
	v_max3_f32 v5, v4, v16, v17
	ds_bpermute_b32 v6, v3, v5
	v_xor_b32_e32 v4, 8, v7
	v_cmp_lt_i32_e32 vcc, v4, v18
	v_cndmask_b32_e32 v4, v7, v4, vcc
	v_lshlrev_b32_e32 v4, 2, v4
	s_waitcnt lgkmcnt(0)
	v_max_f32_e32 v6, v6, v6
	v_max_f32_e32 v6, v5, v6
	ds_bpermute_b32 v19, v4, v6
	v_xor_b32_e32 v5, 4, v7
	v_cmp_lt_i32_e32 vcc, v5, v18
	v_cndmask_b32_e32 v5, v7, v5, vcc
	v_lshlrev_b32_e32 v5, 2, v5
	s_waitcnt lgkmcnt(0)
	v_max_f32_e32 v19, v19, v19
	v_max_f32_e32 v19, v6, v19
	ds_bpermute_b32 v20, v5, v19
	v_xor_b32_e32 v6, 2, v7
	v_cmp_lt_i32_e32 vcc, v6, v18
	v_cndmask_b32_e32 v6, v7, v6, vcc
	v_lshlrev_b32_e32 v6, 2, v6
	s_waitcnt lgkmcnt(0)
	v_max_f32_e32 v20, v20, v20
	v_max_f32_e32 v19, v19, v20
	ds_bpermute_b32 v20, v6, v19
	v_cmp_lt_i32_e32 vcc, v21, v18
	v_cndmask_b32_e32 v7, v7, v21, vcc
	v_lshlrev_b32_e32 v7, 2, v7
	s_waitcnt lgkmcnt(0)
	v_max_f32_e32 v18, v20, v20
	v_max_f32_e32 v18, v19, v18
	ds_bpermute_b32 v19, v7, v18
	v_mov_b32_e32 v20, 0x7f800000
	s_waitcnt lgkmcnt(0)
	v_max_f32_e32 v19, v19, v19
	v_max_f32_e32 v18, v18, v19
	v_pk_add_f32 v[12:13], v[12:13], v[18:19] op_sel_hi:[1,0] neg_lo:[0,1] neg_hi:[0,1]
	v_pk_add_f32 v[14:15], v[14:15], v[18:19] op_sel_hi:[1,0] neg_lo:[0,1] neg_hi:[0,1]
	;; [unrolled: 1-line block ×3, first 2 shown]
	v_mul_f32_e32 v19, 0x3fb8aa3b, v13
	v_mul_f32_e32 v21, 0x3fb8aa3b, v12
	v_fma_f32 v26, v13, s0, -v19
	v_rndne_f32_e32 v27, v19
	v_mul_f32_e32 v22, 0x3fb8aa3b, v15
	v_fma_f32 v28, v12, s0, -v21
	v_rndne_f32_e32 v29, v21
	v_fmac_f32_e32 v26, 0x32a5705f, v13
	v_sub_f32_e32 v19, v19, v27
	v_mul_f32_e32 v23, 0x3fb8aa3b, v14
	v_fma_f32 v30, v15, s0, -v22
	v_rndne_f32_e32 v31, v22
	v_fmac_f32_e32 v28, 0x32a5705f, v12
	v_sub_f32_e32 v21, v21, v29
	v_add_f32_e32 v19, v19, v26
	v_fma_f32 v32, v14, s0, -v23
	v_rndne_f32_e32 v33, v23
	v_cvt_i32_f32_e32 v27, v27
	v_fmac_f32_e32 v30, 0x32a5705f, v15
	v_sub_f32_e32 v22, v22, v31
	v_add_f32_e32 v21, v21, v28
	v_exp_f32_e32 v19, v19
	v_cvt_i32_f32_e32 v29, v29
	v_fmac_f32_e32 v32, 0x32a5705f, v14
	v_sub_f32_e32 v23, v23, v33
	v_add_f32_e32 v22, v22, v30
	v_exp_f32_e32 v21, v21
	v_cvt_i32_f32_e32 v31, v31
	v_add_f32_e32 v23, v23, v32
	v_exp_f32_e32 v22, v22
	v_cvt_i32_f32_e32 v33, v33
	v_exp_f32_e32 v23, v23
	v_mul_f32_e32 v24, 0x3fb8aa3b, v17
	v_ldexp_f32 v19, v19, v27
	v_cmp_ngt_f32_e32 vcc, s1, v13
	v_fma_f32 v34, v17, s0, -v24
	v_rndne_f32_e32 v35, v24
	v_ldexp_f32 v21, v21, v29
	v_cndmask_b32_e32 v19, 0, v19, vcc
	v_cmp_ngt_f32_e32 vcc, s1, v12
	v_mul_f32_e32 v25, 0x3fb8aa3b, v16
	v_fmac_f32_e32 v34, 0x32a5705f, v17
	v_sub_f32_e32 v24, v24, v35
	v_ldexp_f32 v22, v22, v31
	v_cndmask_b32_e32 v21, 0, v21, vcc
	v_cmp_ngt_f32_e32 vcc, s1, v15
	v_fma_f32 v36, v16, s0, -v25
	v_rndne_f32_e32 v37, v25
	v_add_f32_e32 v24, v24, v34
	v_ldexp_f32 v23, v23, v33
	v_cndmask_b32_e32 v22, 0, v22, vcc
	v_cmp_ngt_f32_e32 vcc, s1, v14
	v_cvt_i32_f32_e32 v35, v35
	v_fmac_f32_e32 v36, 0x32a5705f, v16
	v_sub_f32_e32 v25, v25, v37
	v_exp_f32_e32 v24, v24
	v_cndmask_b32_e32 v23, 0, v23, vcc
	v_cmp_nlt_f32_e32 vcc, s2, v13
	v_add_f32_e32 v25, v25, v36
	v_cndmask_b32_e32 v13, v20, v19, vcc
	v_cmp_nlt_f32_e32 vcc, s2, v12
	v_cvt_i32_f32_e32 v37, v37
	v_exp_f32_e32 v25, v25
	v_cndmask_b32_e32 v12, v20, v21, vcc
	v_cmp_nlt_f32_e32 vcc, s2, v15
	v_cndmask_b32_e32 v15, v20, v22, vcc
	v_cmp_nlt_f32_e32 vcc, s2, v14
	v_ldexp_f32 v24, v24, v35
	v_cndmask_b32_e32 v14, v20, v23, vcc
	v_cmp_ngt_f32_e32 vcc, s1, v17
	v_cndmask_b32_e32 v19, 0, v24, vcc
	v_cmp_nlt_f32_e32 vcc, s2, v17
	v_cndmask_b32_e32 v17, v20, v19, vcc
	v_ldexp_f32 v19, v25, v37
	v_pk_add_f32 v[10:11], v[10:11], v[18:19] op_sel_hi:[1,0] neg_lo:[0,1] neg_hi:[0,1]
	v_mul_f32_e32 v18, 0x3fb8aa3b, v11
	v_fma_f32 v21, v11, s0, -v18
	v_rndne_f32_e32 v22, v18
	v_fmac_f32_e32 v21, 0x32a5705f, v11
	v_sub_f32_e32 v18, v18, v22
	v_add_f32_e32 v18, v18, v21
	v_exp_f32_e32 v18, v18
	v_cvt_i32_f32_e32 v21, v22
	v_cmp_ngt_f32_e32 vcc, s1, v16
	v_cndmask_b32_e32 v19, 0, v19, vcc
	v_cmp_nlt_f32_e32 vcc, s2, v16
	v_cndmask_b32_e32 v16, v20, v19, vcc
	v_mul_f32_e32 v19, 0x3fb8aa3b, v10
	v_ldexp_f32 v18, v18, v21
	v_fma_f32 v21, v10, s0, -v19
	v_rndne_f32_e32 v22, v19
	v_fmac_f32_e32 v21, 0x32a5705f, v10
	v_sub_f32_e32 v19, v19, v22
	v_add_f32_e32 v19, v19, v21
	v_exp_f32_e32 v19, v19
	v_cvt_i32_f32_e32 v21, v22
	v_cmp_ngt_f32_e32 vcc, s1, v11
	v_cndmask_b32_e32 v18, 0, v18, vcc
	v_cmp_nlt_f32_e32 vcc, s2, v11
	v_cndmask_b32_e32 v11, v20, v18, vcc
	v_ldexp_f32 v18, v19, v21
	v_cmp_ngt_f32_e32 vcc, s1, v10
	v_cndmask_b32_e32 v18, 0, v18, vcc
	v_cmp_nlt_f32_e32 vcc, s2, v10
	v_cndmask_b32_e32 v10, v20, v18, vcc
	v_add_f32_e32 v18, v10, v11
	v_add_f32_e32 v18, v18, v12
	;; [unrolled: 1-line block ×7, first 2 shown]
	ds_bpermute_b32 v19, v3, v18
	s_load_dwordx2 s[0:1], s[4:5], 0x4
	s_load_dwordx4 s[8:11], s[6:7], 0x30
	s_waitcnt lgkmcnt(0)
	s_mov_b32 s11, 0
	v_add_f32_e32 v18, v18, v19
	ds_bpermute_b32 v19, v4, v18
	s_lshr_b32 s0, s0, 16
	s_mul_i32 s0, s0, s1
	v_mul_u32_u24_e32 v9, s1, v9
	v_mad_u32_u24 v8, s0, v8, v9
	s_waitcnt lgkmcnt(0)
	v_add_f32_e32 v18, v18, v19
	ds_bpermute_b32 v19, v5, v18
	v_add_lshl_u32 v0, v8, v0, 5
	s_cmp_lt_i32 s8, 1
	s_waitcnt lgkmcnt(0)
	v_add_f32_e32 v18, v18, v19
	ds_bpermute_b32 v19, v6, v18
	s_waitcnt lgkmcnt(0)
	v_add_f32_e32 v18, v18, v19
	ds_bpermute_b32 v19, v7, v18
	s_waitcnt lgkmcnt(0)
	v_add_f32_e32 v9, v18, v19
	v_div_scale_f32 v18, s[0:1], v9, v9, 1.0
	v_rcp_f32_e32 v19, v18
	v_fma_f32 v8, -v18, v19, 1.0
	v_fmac_f32_e32 v19, v8, v19
	v_div_scale_f32 v8, vcc, 1.0, v9, 1.0
	v_mul_f32_e32 v20, v8, v19
	v_fma_f32 v21, -v18, v20, v8
	v_fmac_f32_e32 v20, v21, v19
	v_fma_f32 v8, -v18, v20, v8
	v_div_fmas_f32 v8, v8, v19, v20
	v_div_fixup_f32 v18, v8, v9, 1.0
	v_pk_mul_f32 v[8:9], v[18:19], v[10:11] op_sel_hi:[0,1]
	v_pk_mul_f32 v[10:11], v[18:19], v[12:13] op_sel_hi:[0,1]
	ds_write_b128 v0, v[8:11]
	v_pk_mul_f32 v[8:9], v[18:19], v[14:15] op_sel_hi:[0,1]
	v_pk_mul_f32 v[10:11], v[18:19], v[16:17] op_sel_hi:[0,1]
	ds_write_b128 v0, v[8:11] offset:16
	s_cbranch_scc1 .LBB62_31
; %bb.5:
	s_load_dwordx4 s[4:7], s[6:7], 0x20
	v_lshlrev_b32_e32 v8, 2, v2
	v_cmp_eq_u32_e32 vcc, 0, v2
	v_mul_lo_u32 v9, v1, s8
	v_mov_b32_e32 v10, 0xc61c4000
	v_mov_b32_e32 v11, 0x80
	;; [unrolled: 1-line block ×6, first 2 shown]
	s_branch .LBB62_7
.LBB62_6:                               ;   in Loop: Header=BB62_7 Depth=1
	s_or_b64 exec, exec, s[0:1]
	s_cmp_lg_u32 s8, s11
	v_add_u32_e32 v1, s20, v1
	s_cbranch_scc0 .LBB62_31
.LBB62_7:                               ; =>This Inner Loop Header: Depth=1
	ds_read_b128 v[16:19], v0
	ds_read_b128 v[20:23], v0 offset:16
	s_waitcnt lgkmcnt(0)
	v_cmp_gt_f32_e64 s[0:1], v17, v16
	v_cndmask_b32_e64 v16, v16, v17, s[0:1]
	v_cndmask_b32_e64 v17, 0, 1, s[0:1]
	v_cmp_gt_f32_e64 s[0:1], v18, v16
	v_cndmask_b32_e64 v16, v16, v18, s[0:1]
	v_cndmask_b32_e64 v17, v17, 2, s[0:1]
	;; [unrolled: 3-line block ×7, first 2 shown]
	ds_bpermute_b32 v18, v3, v17
	v_or_b32_e32 v16, v8, v16
	ds_bpermute_b32 v19, v3, v16
	s_waitcnt lgkmcnt(1)
	v_cmp_lt_f32_e64 s[16:17], v17, v18
	v_cmp_nlt_f32_e64 s[0:1], v17, v18
	s_and_saveexec_b64 s[18:19], s[0:1]
	s_cbranch_execz .LBB62_9
; %bb.8:                                ;   in Loop: Header=BB62_7 Depth=1
	v_cmp_eq_f32_e64 s[0:1], v17, v18
	s_waitcnt lgkmcnt(0)
	v_cmp_lt_i32_e64 s[2:3], v19, v16
	s_and_b64 s[0:1], s[0:1], s[2:3]
	s_andn2_b64 s[2:3], s[16:17], exec
	s_and_b64 s[0:1], s[0:1], exec
	s_or_b64 s[16:17], s[2:3], s[0:1]
.LBB62_9:                               ;   in Loop: Header=BB62_7 Depth=1
	s_or_b64 exec, exec, s[18:19]
	s_and_saveexec_b64 s[0:1], s[16:17]
	s_cbranch_execz .LBB62_11
; %bb.10:                               ;   in Loop: Header=BB62_7 Depth=1
	v_mov_b32_e32 v17, v18
	s_waitcnt lgkmcnt(0)
	v_mov_b32_e32 v16, v19
.LBB62_11:                              ;   in Loop: Header=BB62_7 Depth=1
	s_or_b64 exec, exec, s[0:1]
	s_waitcnt lgkmcnt(0)
	ds_bpermute_b32 v19, v4, v17
	ds_bpermute_b32 v18, v4, v16
	s_waitcnt lgkmcnt(1)
	v_cmp_lt_f32_e64 s[16:17], v17, v19
	v_cmp_nlt_f32_e64 s[0:1], v17, v19
	s_and_saveexec_b64 s[18:19], s[0:1]
	s_cbranch_execz .LBB62_13
; %bb.12:                               ;   in Loop: Header=BB62_7 Depth=1
	v_cmp_eq_f32_e64 s[0:1], v17, v19
	s_waitcnt lgkmcnt(0)
	v_cmp_lt_i32_e64 s[2:3], v18, v16
	s_and_b64 s[0:1], s[0:1], s[2:3]
	s_andn2_b64 s[2:3], s[16:17], exec
	s_and_b64 s[0:1], s[0:1], exec
	s_or_b64 s[16:17], s[2:3], s[0:1]
.LBB62_13:                              ;   in Loop: Header=BB62_7 Depth=1
	s_or_b64 exec, exec, s[18:19]
	s_and_saveexec_b64 s[0:1], s[16:17]
	s_cbranch_execz .LBB62_15
; %bb.14:                               ;   in Loop: Header=BB62_7 Depth=1
	v_mov_b32_e32 v17, v19
	s_waitcnt lgkmcnt(0)
	v_mov_b32_e32 v16, v18
.LBB62_15:                              ;   in Loop: Header=BB62_7 Depth=1
	s_or_b64 exec, exec, s[0:1]
	ds_bpermute_b32 v19, v5, v17
	s_waitcnt lgkmcnt(1)
	ds_bpermute_b32 v18, v5, v16
	s_waitcnt lgkmcnt(1)
	v_cmp_lt_f32_e64 s[16:17], v17, v19
	v_cmp_nlt_f32_e64 s[0:1], v17, v19
	s_and_saveexec_b64 s[18:19], s[0:1]
	s_cbranch_execz .LBB62_17
; %bb.16:                               ;   in Loop: Header=BB62_7 Depth=1
	v_cmp_eq_f32_e64 s[0:1], v17, v19
	s_waitcnt lgkmcnt(0)
	v_cmp_lt_i32_e64 s[2:3], v18, v16
	s_and_b64 s[0:1], s[0:1], s[2:3]
	s_andn2_b64 s[2:3], s[16:17], exec
	s_and_b64 s[0:1], s[0:1], exec
	s_or_b64 s[16:17], s[2:3], s[0:1]
.LBB62_17:                              ;   in Loop: Header=BB62_7 Depth=1
	s_or_b64 exec, exec, s[18:19]
	s_and_saveexec_b64 s[0:1], s[16:17]
	s_cbranch_execz .LBB62_19
; %bb.18:                               ;   in Loop: Header=BB62_7 Depth=1
	v_mov_b32_e32 v17, v19
	s_waitcnt lgkmcnt(0)
	v_mov_b32_e32 v16, v18
.LBB62_19:                              ;   in Loop: Header=BB62_7 Depth=1
	s_or_b64 exec, exec, s[0:1]
	ds_bpermute_b32 v19, v6, v17
	s_waitcnt lgkmcnt(1)
	ds_bpermute_b32 v18, v6, v16
	s_waitcnt lgkmcnt(1)
	v_cmp_lt_f32_e64 s[16:17], v17, v19
	v_cmp_nlt_f32_e64 s[0:1], v17, v19
	s_and_saveexec_b64 s[18:19], s[0:1]
	s_cbranch_execz .LBB62_21
; %bb.20:                               ;   in Loop: Header=BB62_7 Depth=1
	v_cmp_eq_f32_e64 s[0:1], v17, v19
	s_waitcnt lgkmcnt(0)
	v_cmp_lt_i32_e64 s[2:3], v18, v16
	s_and_b64 s[0:1], s[0:1], s[2:3]
	s_andn2_b64 s[2:3], s[16:17], exec
	s_and_b64 s[0:1], s[0:1], exec
	s_or_b64 s[16:17], s[2:3], s[0:1]
.LBB62_21:                              ;   in Loop: Header=BB62_7 Depth=1
	s_or_b64 exec, exec, s[18:19]
	s_and_saveexec_b64 s[0:1], s[16:17]
	s_cbranch_execz .LBB62_23
; %bb.22:                               ;   in Loop: Header=BB62_7 Depth=1
	v_mov_b32_e32 v17, v19
	s_waitcnt lgkmcnt(0)
	v_mov_b32_e32 v16, v18
.LBB62_23:                              ;   in Loop: Header=BB62_7 Depth=1
	s_or_b64 exec, exec, s[0:1]
	s_waitcnt lgkmcnt(0)
	ds_bpermute_b32 v18, v7, v17
	ds_bpermute_b32 v19, v7, v16
	s_waitcnt lgkmcnt(1)
	v_cmp_lt_f32_e64 s[16:17], v17, v18
	v_cmp_nlt_f32_e64 s[0:1], v17, v18
	s_and_saveexec_b64 s[18:19], s[0:1]
	s_cbranch_execnz .LBB62_29
; %bb.24:                               ;   in Loop: Header=BB62_7 Depth=1
	s_or_b64 exec, exec, s[18:19]
	s_and_saveexec_b64 s[0:1], s[16:17]
	s_cbranch_execnz .LBB62_30
.LBB62_25:                              ;   in Loop: Header=BB62_7 Depth=1
	s_or_b64 exec, exec, s[0:1]
	s_and_saveexec_b64 s[16:17], vcc
	s_cbranch_execz .LBB62_27
.LBB62_26:                              ;   in Loop: Header=BB62_7 Depth=1
	v_add_u32_e32 v18, s11, v9
	s_waitcnt lgkmcnt(0)
	v_ashrrev_i32_e32 v19, 31, v18
	v_cmp_le_i32_e64 s[0:1], s9, v16
	v_cmp_gt_i32_e64 s[2:3], s10, v16
	v_lshlrev_b64 v[20:21], 2, v[18:19]
	s_and_b64 s[2:3], s[0:1], s[2:3]
	v_mov_b32_e32 v23, s13
	v_add_co_u32_e64 v22, s[0:1], s12, v20
	v_addc_co_u32_e64 v23, s[0:1], v23, v21, s[0:1]
	global_store_dword v[22:23], v17, off
	v_subrev_u32_e32 v17, s9, v16
	v_ashrrev_i32_e32 v22, 31, v17
	s_and_b64 s[0:1], s[14:15], s[2:3]
	v_lshlrev_b64 v[18:19], 3, v[18:19]
	v_cndmask_b32_e64 v23, 0, v22, s[0:1]
	v_cndmask_b32_e64 v22, v15, v17, s[0:1]
	v_mov_b32_e32 v17, s5
	v_add_co_u32_e64 v18, s[0:1], s4, v18
	v_addc_co_u32_e64 v19, s[0:1], v17, v19, s[0:1]
	global_store_dwordx2 v[18:19], v[22:23], off
	v_mov_b32_e32 v17, s7
	v_add_co_u32_e64 v18, s[0:1], s6, v20
	v_addc_co_u32_e64 v19, s[0:1], v17, v21, s[0:1]
	global_store_dword v[18:19], v1, off
.LBB62_27:                              ;   in Loop: Header=BB62_7 Depth=1
	s_or_b64 exec, exec, s[16:17]
	v_ashrrev_i32_e32 v18, 31, v16
	v_lshrrev_b32_e32 v17, 30, v18
	s_waitcnt lgkmcnt(0)
	v_add_u32_e32 v19, v16, v17
	v_ashrrev_i32_e32 v17, 2, v19
	v_ashrrev_i32_e32 v19, 31, v19
	v_lshrrev_b32_e32 v19, 27, v19
	v_add_u32_e32 v19, v17, v19
	s_add_i32 s11, s11, 1
	v_and_b32_e32 v19, 0xffffffe0, v19
	s_cmp_lt_i32 s11, s8
	v_sub_u32_e32 v19, v17, v19
	s_cselect_b64 s[2:3], -1, 0
	v_cmp_eq_u32_e64 s[0:1], v2, v19
	s_and_b64 s[2:3], s[2:3], s[0:1]
	s_and_saveexec_b64 s[0:1], s[2:3]
	s_cbranch_execz .LBB62_6
; %bb.28:                               ;   in Loop: Header=BB62_7 Depth=1
	v_lshrrev_b32_e32 v18, 25, v18
	v_add_u32_e32 v18, v16, v18
	v_lshlrev_b32_e32 v17, 2, v17
	v_ashrrev_i32_e32 v18, 7, v18
	v_sub_u32_e32 v16, v16, v17
	v_lshl_add_u32 v16, v18, 2, v16
	v_lshl_add_u32 v16, v16, 2, v0
	ds_write_b32 v16, v10
	s_branch .LBB62_6
.LBB62_29:                              ;   in Loop: Header=BB62_7 Depth=1
	v_cmp_eq_f32_e64 s[0:1], v17, v18
	s_waitcnt lgkmcnt(0)
	v_cmp_lt_i32_e64 s[2:3], v19, v16
	s_and_b64 s[0:1], s[0:1], s[2:3]
	s_andn2_b64 s[2:3], s[16:17], exec
	s_and_b64 s[0:1], s[0:1], exec
	s_or_b64 s[16:17], s[2:3], s[0:1]
	s_or_b64 exec, exec, s[18:19]
	s_and_saveexec_b64 s[0:1], s[16:17]
	s_cbranch_execz .LBB62_25
.LBB62_30:                              ;   in Loop: Header=BB62_7 Depth=1
	v_mov_b32_e32 v17, v18
	s_waitcnt lgkmcnt(0)
	v_mov_b32_e32 v16, v19
	s_or_b64 exec, exec, s[0:1]
	s_and_saveexec_b64 s[16:17], vcc
	s_cbranch_execnz .LBB62_26
	s_branch .LBB62_27
.LBB62_31:
	s_endpgm
	.section	.rodata,"a",@progbits
	.p2align	6, 0x0
	.amdhsa_kernel _ZN4vllm3moe17topkGatingSoftmaxILi8ELi256ELi4ELi16ELi32ElEEvPKfPKbPfiPT4_Piiii
		.amdhsa_group_segment_fixed_size 4096
		.amdhsa_private_segment_fixed_size 0
		.amdhsa_kernarg_size 60
		.amdhsa_user_sgpr_count 8
		.amdhsa_user_sgpr_private_segment_buffer 1
		.amdhsa_user_sgpr_dispatch_ptr 1
		.amdhsa_user_sgpr_queue_ptr 0
		.amdhsa_user_sgpr_kernarg_segment_ptr 1
		.amdhsa_user_sgpr_dispatch_id 0
		.amdhsa_user_sgpr_flat_scratch_init 0
		.amdhsa_user_sgpr_kernarg_preload_length 0
		.amdhsa_user_sgpr_kernarg_preload_offset 0
		.amdhsa_user_sgpr_private_segment_size 0
		.amdhsa_uses_dynamic_stack 0
		.amdhsa_system_sgpr_private_segment_wavefront_offset 0
		.amdhsa_system_sgpr_workgroup_id_x 1
		.amdhsa_system_sgpr_workgroup_id_y 0
		.amdhsa_system_sgpr_workgroup_id_z 0
		.amdhsa_system_sgpr_workgroup_info 0
		.amdhsa_system_vgpr_workitem_id 2
		.amdhsa_next_free_vgpr 38
		.amdhsa_next_free_sgpr 21
		.amdhsa_accum_offset 40
		.amdhsa_reserve_vcc 1
		.amdhsa_reserve_flat_scratch 0
		.amdhsa_float_round_mode_32 0
		.amdhsa_float_round_mode_16_64 0
		.amdhsa_float_denorm_mode_32 3
		.amdhsa_float_denorm_mode_16_64 3
		.amdhsa_dx10_clamp 1
		.amdhsa_ieee_mode 1
		.amdhsa_fp16_overflow 0
		.amdhsa_tg_split 0
		.amdhsa_exception_fp_ieee_invalid_op 0
		.amdhsa_exception_fp_denorm_src 0
		.amdhsa_exception_fp_ieee_div_zero 0
		.amdhsa_exception_fp_ieee_overflow 0
		.amdhsa_exception_fp_ieee_underflow 0
		.amdhsa_exception_fp_ieee_inexact 0
		.amdhsa_exception_int_div_zero 0
	.end_amdhsa_kernel
	.section	.text._ZN4vllm3moe17topkGatingSoftmaxILi8ELi256ELi4ELi16ELi32ElEEvPKfPKbPfiPT4_Piiii,"axG",@progbits,_ZN4vllm3moe17topkGatingSoftmaxILi8ELi256ELi4ELi16ELi32ElEEvPKfPKbPfiPT4_Piiii,comdat
.Lfunc_end62:
	.size	_ZN4vllm3moe17topkGatingSoftmaxILi8ELi256ELi4ELi16ELi32ElEEvPKfPKbPfiPT4_Piiii, .Lfunc_end62-_ZN4vllm3moe17topkGatingSoftmaxILi8ELi256ELi4ELi16ELi32ElEEvPKfPKbPfiPT4_Piiii
                                        ; -- End function
	.section	.AMDGPU.csdata,"",@progbits
; Kernel info:
; codeLenInByte = 2516
; NumSgprs: 25
; NumVgprs: 38
; NumAgprs: 0
; TotalNumVgprs: 38
; ScratchSize: 0
; MemoryBound: 0
; FloatMode: 240
; IeeeMode: 1
; LDSByteSize: 4096 bytes/workgroup (compile time only)
; SGPRBlocks: 3
; VGPRBlocks: 4
; NumSGPRsForWavesPerEU: 25
; NumVGPRsForWavesPerEU: 38
; AccumOffset: 40
; Occupancy: 8
; WaveLimiterHint : 0
; COMPUTE_PGM_RSRC2:SCRATCH_EN: 0
; COMPUTE_PGM_RSRC2:USER_SGPR: 8
; COMPUTE_PGM_RSRC2:TRAP_HANDLER: 0
; COMPUTE_PGM_RSRC2:TGID_X_EN: 1
; COMPUTE_PGM_RSRC2:TGID_Y_EN: 0
; COMPUTE_PGM_RSRC2:TGID_Z_EN: 0
; COMPUTE_PGM_RSRC2:TIDIG_COMP_CNT: 2
; COMPUTE_PGM_RSRC3_GFX90A:ACCUM_OFFSET: 9
; COMPUTE_PGM_RSRC3_GFX90A:TG_SPLIT: 0
	.section	.text._ZN4vllm3moe17topkGatingSoftmaxILi8ELi512ELi4ELi16ELi64ElEEvPKfPKbPfiPT4_Piiii,"axG",@progbits,_ZN4vllm3moe17topkGatingSoftmaxILi8ELi512ELi4ELi16ELi64ElEEvPKfPKbPfiPT4_Piiii,comdat
	.protected	_ZN4vllm3moe17topkGatingSoftmaxILi8ELi512ELi4ELi16ELi64ElEEvPKfPKbPfiPT4_Piiii ; -- Begin function _ZN4vllm3moe17topkGatingSoftmaxILi8ELi512ELi4ELi16ELi64ElEEvPKfPKbPfiPT4_Piiii
	.globl	_ZN4vllm3moe17topkGatingSoftmaxILi8ELi512ELi4ELi16ELi64ElEEvPKfPKbPfiPT4_Piiii
	.p2align	8
	.type	_ZN4vllm3moe17topkGatingSoftmaxILi8ELi512ELi4ELi16ELi64ElEEvPKfPKbPfiPT4_Piiii,@function
_ZN4vllm3moe17topkGatingSoftmaxILi8ELi512ELi4ELi16ELi64ElEEvPKfPKbPfiPT4_Piiii: ; @_ZN4vllm3moe17topkGatingSoftmaxILi8ELi512ELi4ELi16ELi64ElEEvPKfPKbPfiPT4_Piiii
; %bb.0:
	s_load_dword s20, s[6:7], 0x18
	v_and_b32_e32 v13, 0x3ff, v0
	v_bfe_u32 v14, v0, 10, 10
	s_lshl_b32 s0, s8, 2
	v_lshrrev_b32_e32 v1, 6, v13
	v_add3_u32 v1, s0, v14, v1
	s_waitcnt lgkmcnt(0)
	v_cmp_gt_i32_e32 vcc, s20, v1
	s_and_saveexec_b64 s[0:1], vcc
	s_cbranch_execz .LBB63_35
; %bb.1:
	s_load_dwordx4 s[0:3], s[6:7], 0x0
	s_load_dwordx2 s[12:13], s[6:7], 0x10
	s_waitcnt lgkmcnt(0)
	s_cmp_eq_u64 s[2:3], 0
	s_cbranch_scc1 .LBB63_3
; %bb.2:
	v_ashrrev_i32_e32 v3, 31, v1
	v_mov_b32_e32 v4, s3
	v_add_co_u32_e32 v2, vcc, s2, v1
	v_addc_co_u32_e32 v3, vcc, v4, v3, vcc
	global_load_ubyte v2, v[2:3], off
	s_waitcnt vmcnt(0)
	v_and_b32_e32 v2, 1, v2
	v_cmp_eq_u32_e32 vcc, 1, v2
	s_xor_b64 s[2:3], vcc, -1
	s_orn2_b64 s[14:15], s[2:3], exec
	s_branch .LBB63_4
.LBB63_3:
	s_mov_b64 s[14:15], -1
.LBB63_4:
	v_lshlrev_b32_e32 v2, 9, v1
	v_ashrrev_i32_e32 v3, 31, v2
	v_lshlrev_b64 v[2:3], 2, v[2:3]
	v_mov_b32_e32 v4, s1
	v_add_co_u32_e32 v2, vcc, s0, v2
	v_and_b32_e32 v6, 63, v13
	v_addc_co_u32_e32 v3, vcc, v4, v3, vcc
	v_lshlrev_b32_e32 v4, 4, v6
	v_add_co_u32_e32 v8, vcc, v2, v4
	v_addc_co_u32_e32 v9, vcc, 0, v3, vcc
	global_load_dwordx4 v[2:5], v[8:9], off
	global_load_dwordx4 v[16:19], v[8:9], off offset:1024
	v_mbcnt_lo_u32_b32 v7, -1, 0
	v_mbcnt_hi_u32_b32 v12, -1, v7
	v_and_b32_e32 v7, 64, v12
	v_xor_b32_e32 v8, 32, v12
	v_add_u32_e32 v15, 64, v7
	v_cmp_lt_i32_e32 vcc, v8, v15
	v_cndmask_b32_e32 v7, v12, v8, vcc
	v_lshlrev_b32_e32 v7, 2, v7
	v_xor_b32_e32 v22, 1, v12
	s_mov_b32 s0, 0x3fb8aa3b
	s_mov_b32 s1, 0xc2ce8ed0
	;; [unrolled: 1-line block ×3, first 2 shown]
	v_bfe_u32 v0, v0, 20, 10
	s_waitcnt vmcnt(1)
	v_max_f32_e32 v8, v3, v3
	v_max_f32_e32 v9, v2, v2
	v_max_f32_e32 v8, v9, v8
	v_max3_f32 v8, v8, v4, v5
	s_waitcnt vmcnt(0)
	v_max3_f32 v8, v8, v16, v17
	v_max3_f32 v9, v8, v18, v19
	ds_bpermute_b32 v10, v7, v9
	v_xor_b32_e32 v8, 16, v12
	v_cmp_lt_i32_e32 vcc, v8, v15
	v_cndmask_b32_e32 v8, v12, v8, vcc
	v_lshlrev_b32_e32 v8, 2, v8
	s_waitcnt lgkmcnt(0)
	v_max_f32_e32 v10, v10, v10
	v_max_f32_e32 v10, v9, v10
	ds_bpermute_b32 v11, v8, v10
	v_xor_b32_e32 v9, 8, v12
	v_cmp_lt_i32_e32 vcc, v9, v15
	v_cndmask_b32_e32 v9, v12, v9, vcc
	v_lshlrev_b32_e32 v9, 2, v9
	s_waitcnt lgkmcnt(0)
	v_max_f32_e32 v11, v11, v11
	v_max_f32_e32 v11, v10, v11
	;; [unrolled: 8-line block ×4, first 2 shown]
	ds_bpermute_b32 v21, v11, v20
	v_cmp_lt_i32_e32 vcc, v22, v15
	v_cndmask_b32_e32 v12, v12, v22, vcc
	v_lshlrev_b32_e32 v12, 2, v12
	s_waitcnt lgkmcnt(0)
	v_max_f32_e32 v15, v21, v21
	v_max_f32_e32 v15, v20, v15
	ds_bpermute_b32 v20, v12, v15
	v_mov_b32_e32 v21, 0x7f800000
	s_waitcnt lgkmcnt(0)
	v_max_f32_e32 v20, v20, v20
	v_max_f32_e32 v20, v15, v20
	v_pk_add_f32 v[4:5], v[4:5], v[20:21] op_sel_hi:[1,0] neg_lo:[0,1] neg_hi:[0,1]
	v_mul_f32_e32 v15, 0x3fb8aa3b, v5
	v_pk_add_f32 v[16:17], v[16:17], v[20:21] op_sel_hi:[1,0] neg_lo:[0,1] neg_hi:[0,1]
	v_mul_f32_e32 v22, 0x3fb8aa3b, v4
	v_fma_f32 v27, v5, s0, -v15
	v_rndne_f32_e32 v28, v15
	v_mul_f32_e32 v23, 0x3fb8aa3b, v17
	v_fma_f32 v29, v4, s0, -v22
	v_rndne_f32_e32 v30, v22
	v_fmac_f32_e32 v27, 0x32a5705f, v5
	v_sub_f32_e32 v15, v15, v28
	v_mul_f32_e32 v24, 0x3fb8aa3b, v16
	v_fma_f32 v31, v17, s0, -v23
	v_rndne_f32_e32 v32, v23
	v_fmac_f32_e32 v29, 0x32a5705f, v4
	v_sub_f32_e32 v22, v22, v30
	v_add_f32_e32 v15, v15, v27
	v_fma_f32 v33, v16, s0, -v24
	v_rndne_f32_e32 v34, v24
	v_cvt_i32_f32_e32 v28, v28
	v_fmac_f32_e32 v31, 0x32a5705f, v17
	v_sub_f32_e32 v23, v23, v32
	v_add_f32_e32 v22, v22, v29
	v_exp_f32_e32 v15, v15
	v_cvt_i32_f32_e32 v30, v30
	v_fmac_f32_e32 v33, 0x32a5705f, v16
	v_sub_f32_e32 v24, v24, v34
	v_add_f32_e32 v23, v23, v31
	v_exp_f32_e32 v22, v22
	v_cvt_i32_f32_e32 v32, v32
	v_add_f32_e32 v24, v24, v33
	v_exp_f32_e32 v23, v23
	v_cvt_i32_f32_e32 v34, v34
	v_exp_f32_e32 v24, v24
	v_ldexp_f32 v15, v15, v28
	v_cmp_ngt_f32_e32 vcc, s1, v5
	v_pk_add_f32 v[18:19], v[18:19], v[20:21] op_sel_hi:[1,0] neg_lo:[0,1] neg_hi:[0,1]
	v_ldexp_f32 v22, v22, v30
	v_cndmask_b32_e32 v15, 0, v15, vcc
	v_cmp_ngt_f32_e32 vcc, s1, v4
	v_mul_f32_e32 v25, 0x3fb8aa3b, v19
	v_ldexp_f32 v23, v23, v32
	v_cndmask_b32_e32 v22, 0, v22, vcc
	v_cmp_ngt_f32_e32 vcc, s1, v17
	v_fma_f32 v35, v19, s0, -v25
	v_rndne_f32_e32 v36, v25
	v_ldexp_f32 v24, v24, v34
	v_cndmask_b32_e32 v23, 0, v23, vcc
	v_cmp_ngt_f32_e32 vcc, s1, v16
	v_mul_f32_e32 v26, 0x3fb8aa3b, v18
	v_fmac_f32_e32 v35, 0x32a5705f, v19
	v_sub_f32_e32 v25, v25, v36
	v_cndmask_b32_e32 v24, 0, v24, vcc
	v_cmp_nlt_f32_e32 vcc, s2, v5
	v_fma_f32 v37, v18, s0, -v26
	v_rndne_f32_e32 v38, v26
	v_add_f32_e32 v25, v25, v35
	v_cndmask_b32_e32 v5, v21, v15, vcc
	v_cmp_nlt_f32_e32 vcc, s2, v4
	v_pk_add_f32 v[2:3], v[2:3], v[20:21] op_sel_hi:[1,0] neg_lo:[0,1] neg_hi:[0,1]
	v_cvt_i32_f32_e32 v36, v36
	v_fmac_f32_e32 v37, 0x32a5705f, v18
	v_sub_f32_e32 v26, v26, v38
	v_exp_f32_e32 v25, v25
	v_cndmask_b32_e32 v4, v21, v22, vcc
	v_cmp_nlt_f32_e32 vcc, s2, v17
	v_mul_f32_e32 v20, 0x3fb8aa3b, v3
	v_add_f32_e32 v26, v26, v37
	v_cndmask_b32_e32 v17, v21, v23, vcc
	v_fma_f32 v22, v3, s0, -v20
	v_rndne_f32_e32 v23, v20
	v_cvt_i32_f32_e32 v38, v38
	v_exp_f32_e32 v26, v26
	v_fmac_f32_e32 v22, 0x32a5705f, v3
	v_sub_f32_e32 v20, v20, v23
	v_cmp_nlt_f32_e32 vcc, s2, v16
	v_add_f32_e32 v20, v20, v22
	v_ldexp_f32 v25, v25, v36
	v_cndmask_b32_e32 v16, v21, v24, vcc
	v_cmp_ngt_f32_e32 vcc, s1, v19
	v_exp_f32_e32 v20, v20
	v_cvt_i32_f32_e32 v22, v23
	v_cndmask_b32_e32 v15, 0, v25, vcc
	v_cmp_nlt_f32_e32 vcc, s2, v19
	v_cndmask_b32_e32 v19, v21, v15, vcc
	v_ldexp_f32 v15, v26, v38
	v_cmp_ngt_f32_e32 vcc, s1, v18
	v_cndmask_b32_e32 v15, 0, v15, vcc
	v_cmp_nlt_f32_e32 vcc, s2, v18
	v_cndmask_b32_e32 v18, v21, v15, vcc
	v_ldexp_f32 v15, v20, v22
	v_mul_f32_e32 v20, 0x3fb8aa3b, v2
	v_fma_f32 v22, v2, s0, -v20
	v_rndne_f32_e32 v23, v20
	v_fmac_f32_e32 v22, 0x32a5705f, v2
	v_sub_f32_e32 v20, v20, v23
	v_add_f32_e32 v20, v20, v22
	v_exp_f32_e32 v20, v20
	v_cvt_i32_f32_e32 v22, v23
	v_cmp_ngt_f32_e32 vcc, s1, v3
	v_cndmask_b32_e32 v15, 0, v15, vcc
	v_cmp_nlt_f32_e32 vcc, s2, v3
	v_cndmask_b32_e32 v3, v21, v15, vcc
	v_ldexp_f32 v15, v20, v22
	v_cmp_ngt_f32_e32 vcc, s1, v2
	v_cndmask_b32_e32 v15, 0, v15, vcc
	v_cmp_nlt_f32_e32 vcc, s2, v2
	v_cndmask_b32_e32 v2, v21, v15, vcc
	v_add_f32_e32 v15, v2, v3
	v_add_f32_e32 v15, v15, v4
	;; [unrolled: 1-line block ×7, first 2 shown]
	ds_bpermute_b32 v20, v7, v15
	s_load_dwordx2 s[0:1], s[4:5], 0x4
	s_load_dwordx4 s[8:11], s[6:7], 0x30
	s_waitcnt lgkmcnt(0)
	s_mov_b32 s11, 0
	v_add_f32_e32 v15, v15, v20
	ds_bpermute_b32 v20, v8, v15
	s_lshr_b32 s0, s0, 16
	s_mul_i32 s0, s0, s1
	v_mul_lo_u32 v13, s0, v13
	v_mad_u32_u24 v13, v14, s1, v13
	s_waitcnt lgkmcnt(0)
	v_add_f32_e32 v15, v15, v20
	ds_bpermute_b32 v20, v9, v15
	v_add_lshl_u32 v0, v13, v0, 5
	s_cmp_lt_i32 s8, 1
	s_waitcnt lgkmcnt(0)
	v_add_f32_e32 v15, v15, v20
	ds_bpermute_b32 v20, v10, v15
	s_waitcnt lgkmcnt(0)
	v_add_f32_e32 v15, v15, v20
	ds_bpermute_b32 v20, v11, v15
	s_waitcnt lgkmcnt(0)
	v_add_f32_e32 v15, v15, v20
	ds_bpermute_b32 v20, v12, v15
	s_waitcnt lgkmcnt(0)
	v_add_f32_e32 v14, v15, v20
	v_div_scale_f32 v15, s[0:1], v14, v14, 1.0
	v_rcp_f32_e32 v20, v15
	v_fma_f32 v13, -v15, v20, 1.0
	v_fmac_f32_e32 v20, v13, v20
	v_div_scale_f32 v13, vcc, 1.0, v14, 1.0
	v_mul_f32_e32 v21, v13, v20
	v_fma_f32 v22, -v15, v21, v13
	v_fmac_f32_e32 v21, v22, v20
	v_fma_f32 v13, -v15, v21, v13
	v_div_fmas_f32 v13, v13, v20, v21
	v_div_fixup_f32 v14, v13, v14, 1.0
	v_pk_mul_f32 v[2:3], v[14:15], v[2:3] op_sel_hi:[0,1]
	v_pk_mul_f32 v[4:5], v[14:15], v[4:5] op_sel_hi:[0,1]
	ds_write_b128 v0, v[2:5]
	v_pk_mul_f32 v[2:3], v[14:15], v[16:17] op_sel_hi:[0,1]
	v_pk_mul_f32 v[4:5], v[14:15], v[18:19] op_sel_hi:[0,1]
	ds_write_b128 v0, v[2:5] offset:16
	s_cbranch_scc1 .LBB63_35
; %bb.5:
	s_load_dwordx4 s[4:7], s[6:7], 0x20
	v_lshlrev_b32_e32 v2, 2, v6
	v_cmp_eq_u32_e32 vcc, 0, v6
	v_mul_lo_u32 v3, v1, s8
	v_mov_b32_e32 v4, 0xc61c4000
	v_mov_b32_e32 v5, 0x100
	v_mov_b32_e32 v13, 0x101
	v_bfrev_b32_e32 v14, 4.0
	v_bfrev_b32_e32 v15, -4.0
	v_mov_b32_e32 v16, 0x200
	s_branch .LBB63_7
.LBB63_6:                               ;   in Loop: Header=BB63_7 Depth=1
	s_or_b64 exec, exec, s[0:1]
	s_cmp_lg_u32 s8, s11
	v_add_u32_e32 v1, s20, v1
	s_cbranch_scc0 .LBB63_35
.LBB63_7:                               ; =>This Inner Loop Header: Depth=1
	ds_read_b128 v[18:21], v0
	ds_read_b128 v[22:25], v0 offset:16
	s_waitcnt lgkmcnt(0)
	v_cmp_gt_f32_e64 s[0:1], v19, v18
	v_cndmask_b32_e64 v17, v18, v19, s[0:1]
	v_cndmask_b32_e64 v18, 0, 1, s[0:1]
	v_cmp_gt_f32_e64 s[0:1], v20, v17
	v_cndmask_b32_e64 v17, v17, v20, s[0:1]
	v_cndmask_b32_e64 v18, v18, 2, s[0:1]
	v_cmp_gt_f32_e64 s[0:1], v21, v17
	v_cndmask_b32_e64 v17, v17, v21, s[0:1]
	v_cndmask_b32_e64 v18, v18, 3, s[0:1]
	v_cmp_gt_f32_e64 s[0:1], v22, v17
	v_cndmask_b32_e64 v17, v17, v22, s[0:1]
	v_cndmask_b32_e64 v18, v18, v5, s[0:1]
	v_cmp_gt_f32_e64 s[0:1], v23, v17
	v_cndmask_b32_e64 v17, v17, v23, s[0:1]
	v_cndmask_b32_e64 v18, v18, v13, s[0:1]
	v_cmp_gt_f32_e64 s[0:1], v24, v17
	v_cndmask_b32_e64 v17, v17, v24, s[0:1]
	v_cndmask_b32_e64 v19, v18, v14, s[0:1]
	v_cmp_gt_f32_e64 s[0:1], v25, v17
	v_cndmask_b32_e64 v18, v17, v25, s[0:1]
	v_cndmask_b32_e64 v17, v19, v15, s[0:1]
	ds_bpermute_b32 v19, v7, v18
	v_or_b32_e32 v17, v2, v17
	ds_bpermute_b32 v20, v7, v17
	s_waitcnt lgkmcnt(1)
	v_cmp_lt_f32_e64 s[16:17], v18, v19
	v_cmp_nlt_f32_e64 s[0:1], v18, v19
	s_and_saveexec_b64 s[18:19], s[0:1]
	s_cbranch_execz .LBB63_9
; %bb.8:                                ;   in Loop: Header=BB63_7 Depth=1
	v_cmp_eq_f32_e64 s[0:1], v18, v19
	s_waitcnt lgkmcnt(0)
	v_cmp_lt_i32_e64 s[2:3], v20, v17
	s_and_b64 s[0:1], s[0:1], s[2:3]
	s_andn2_b64 s[2:3], s[16:17], exec
	s_and_b64 s[0:1], s[0:1], exec
	s_or_b64 s[16:17], s[2:3], s[0:1]
.LBB63_9:                               ;   in Loop: Header=BB63_7 Depth=1
	s_or_b64 exec, exec, s[18:19]
	s_and_saveexec_b64 s[0:1], s[16:17]
	s_cbranch_execz .LBB63_11
; %bb.10:                               ;   in Loop: Header=BB63_7 Depth=1
	v_mov_b32_e32 v18, v19
	s_waitcnt lgkmcnt(0)
	v_mov_b32_e32 v17, v20
.LBB63_11:                              ;   in Loop: Header=BB63_7 Depth=1
	s_or_b64 exec, exec, s[0:1]
	s_waitcnt lgkmcnt(0)
	ds_bpermute_b32 v20, v8, v18
	ds_bpermute_b32 v19, v8, v17
	s_waitcnt lgkmcnt(1)
	v_cmp_lt_f32_e64 s[16:17], v18, v20
	v_cmp_nlt_f32_e64 s[0:1], v18, v20
	s_and_saveexec_b64 s[18:19], s[0:1]
	s_cbranch_execz .LBB63_13
; %bb.12:                               ;   in Loop: Header=BB63_7 Depth=1
	v_cmp_eq_f32_e64 s[0:1], v18, v20
	s_waitcnt lgkmcnt(0)
	v_cmp_lt_i32_e64 s[2:3], v19, v17
	s_and_b64 s[0:1], s[0:1], s[2:3]
	s_andn2_b64 s[2:3], s[16:17], exec
	s_and_b64 s[0:1], s[0:1], exec
	s_or_b64 s[16:17], s[2:3], s[0:1]
.LBB63_13:                              ;   in Loop: Header=BB63_7 Depth=1
	s_or_b64 exec, exec, s[18:19]
	s_and_saveexec_b64 s[0:1], s[16:17]
	s_cbranch_execz .LBB63_15
; %bb.14:                               ;   in Loop: Header=BB63_7 Depth=1
	v_mov_b32_e32 v18, v20
	s_waitcnt lgkmcnt(0)
	v_mov_b32_e32 v17, v19
.LBB63_15:                              ;   in Loop: Header=BB63_7 Depth=1
	s_or_b64 exec, exec, s[0:1]
	ds_bpermute_b32 v20, v9, v18
	s_waitcnt lgkmcnt(1)
	ds_bpermute_b32 v19, v9, v17
	s_waitcnt lgkmcnt(1)
	v_cmp_lt_f32_e64 s[16:17], v18, v20
	v_cmp_nlt_f32_e64 s[0:1], v18, v20
	s_and_saveexec_b64 s[18:19], s[0:1]
	s_cbranch_execz .LBB63_17
; %bb.16:                               ;   in Loop: Header=BB63_7 Depth=1
	v_cmp_eq_f32_e64 s[0:1], v18, v20
	s_waitcnt lgkmcnt(0)
	v_cmp_lt_i32_e64 s[2:3], v19, v17
	s_and_b64 s[0:1], s[0:1], s[2:3]
	s_andn2_b64 s[2:3], s[16:17], exec
	s_and_b64 s[0:1], s[0:1], exec
	s_or_b64 s[16:17], s[2:3], s[0:1]
.LBB63_17:                              ;   in Loop: Header=BB63_7 Depth=1
	s_or_b64 exec, exec, s[18:19]
	s_and_saveexec_b64 s[0:1], s[16:17]
	s_cbranch_execz .LBB63_19
; %bb.18:                               ;   in Loop: Header=BB63_7 Depth=1
	v_mov_b32_e32 v18, v20
	s_waitcnt lgkmcnt(0)
	v_mov_b32_e32 v17, v19
.LBB63_19:                              ;   in Loop: Header=BB63_7 Depth=1
	s_or_b64 exec, exec, s[0:1]
	ds_bpermute_b32 v20, v10, v18
	s_waitcnt lgkmcnt(1)
	;; [unrolled: 26-line block ×3, first 2 shown]
	ds_bpermute_b32 v19, v11, v17
	s_waitcnt lgkmcnt(1)
	v_cmp_lt_f32_e64 s[16:17], v18, v20
	v_cmp_nlt_f32_e64 s[0:1], v18, v20
	s_and_saveexec_b64 s[18:19], s[0:1]
	s_cbranch_execz .LBB63_25
; %bb.24:                               ;   in Loop: Header=BB63_7 Depth=1
	v_cmp_eq_f32_e64 s[0:1], v18, v20
	s_waitcnt lgkmcnt(0)
	v_cmp_lt_i32_e64 s[2:3], v19, v17
	s_and_b64 s[0:1], s[0:1], s[2:3]
	s_andn2_b64 s[2:3], s[16:17], exec
	s_and_b64 s[0:1], s[0:1], exec
	s_or_b64 s[16:17], s[2:3], s[0:1]
.LBB63_25:                              ;   in Loop: Header=BB63_7 Depth=1
	s_or_b64 exec, exec, s[18:19]
	s_and_saveexec_b64 s[0:1], s[16:17]
	s_cbranch_execz .LBB63_27
; %bb.26:                               ;   in Loop: Header=BB63_7 Depth=1
	v_mov_b32_e32 v18, v20
	s_waitcnt lgkmcnt(0)
	v_mov_b32_e32 v17, v19
.LBB63_27:                              ;   in Loop: Header=BB63_7 Depth=1
	s_or_b64 exec, exec, s[0:1]
	s_waitcnt lgkmcnt(0)
	ds_bpermute_b32 v19, v12, v18
	ds_bpermute_b32 v20, v12, v17
	s_waitcnt lgkmcnt(1)
	v_cmp_lt_f32_e64 s[16:17], v18, v19
	v_cmp_nlt_f32_e64 s[0:1], v18, v19
	s_and_saveexec_b64 s[18:19], s[0:1]
	s_cbranch_execnz .LBB63_33
; %bb.28:                               ;   in Loop: Header=BB63_7 Depth=1
	s_or_b64 exec, exec, s[18:19]
	s_and_saveexec_b64 s[0:1], s[16:17]
	s_cbranch_execnz .LBB63_34
.LBB63_29:                              ;   in Loop: Header=BB63_7 Depth=1
	s_or_b64 exec, exec, s[0:1]
	s_and_saveexec_b64 s[16:17], vcc
	s_cbranch_execz .LBB63_31
.LBB63_30:                              ;   in Loop: Header=BB63_7 Depth=1
	s_waitcnt lgkmcnt(0)
	v_add_u32_e32 v20, s11, v3
	v_ashrrev_i32_e32 v21, 31, v20
	v_cmp_le_i32_e64 s[0:1], s9, v17
	v_cmp_gt_i32_e64 s[2:3], s10, v17
	v_lshlrev_b64 v[22:23], 2, v[20:21]
	s_and_b64 s[2:3], s[0:1], s[2:3]
	v_mov_b32_e32 v19, s13
	v_add_co_u32_e64 v24, s[0:1], s12, v22
	v_addc_co_u32_e64 v25, s[0:1], v19, v23, s[0:1]
	global_store_dword v[24:25], v18, off
	v_subrev_u32_e32 v18, s9, v17
	v_ashrrev_i32_e32 v19, 31, v18
	s_and_b64 s[0:1], s[14:15], s[2:3]
	v_lshlrev_b64 v[20:21], 3, v[20:21]
	v_cndmask_b32_e64 v19, 0, v19, s[0:1]
	v_cndmask_b32_e64 v18, v16, v18, s[0:1]
	v_mov_b32_e32 v24, s5
	v_add_co_u32_e64 v20, s[0:1], s4, v20
	v_addc_co_u32_e64 v21, s[0:1], v24, v21, s[0:1]
	global_store_dwordx2 v[20:21], v[18:19], off
	v_mov_b32_e32 v19, s7
	v_add_co_u32_e64 v18, s[0:1], s6, v22
	v_addc_co_u32_e64 v19, s[0:1], v19, v23, s[0:1]
	global_store_dword v[18:19], v1, off
.LBB63_31:                              ;   in Loop: Header=BB63_7 Depth=1
	s_or_b64 exec, exec, s[16:17]
	v_ashrrev_i32_e32 v18, 31, v17
	v_lshrrev_b32_e32 v19, 30, v18
	s_waitcnt lgkmcnt(0)
	v_add_u32_e32 v20, v17, v19
	v_ashrrev_i32_e32 v19, 2, v20
	v_ashrrev_i32_e32 v20, 31, v20
	v_lshrrev_b32_e32 v20, 26, v20
	v_add_u32_e32 v20, v19, v20
	s_add_i32 s11, s11, 1
	v_and_b32_e32 v20, 0xffffffc0, v20
	s_cmp_lt_i32 s11, s8
	v_sub_u32_e32 v20, v19, v20
	s_cselect_b64 s[2:3], -1, 0
	v_cmp_eq_u32_e64 s[0:1], v6, v20
	s_and_b64 s[2:3], s[2:3], s[0:1]
	s_and_saveexec_b64 s[0:1], s[2:3]
	s_cbranch_execz .LBB63_6
; %bb.32:                               ;   in Loop: Header=BB63_7 Depth=1
	v_add_u32_sdwa v18, v17, v18 dst_sel:DWORD dst_unused:UNUSED_PAD src0_sel:DWORD src1_sel:BYTE_3
	v_lshlrev_b32_e32 v19, 2, v19
	v_ashrrev_i32_e32 v18, 8, v18
	v_sub_u32_e32 v17, v17, v19
	v_lshl_add_u32 v17, v18, 2, v17
	v_lshl_add_u32 v17, v17, 2, v0
	ds_write_b32 v17, v4
	s_branch .LBB63_6
.LBB63_33:                              ;   in Loop: Header=BB63_7 Depth=1
	v_cmp_eq_f32_e64 s[0:1], v18, v19
	s_waitcnt lgkmcnt(0)
	v_cmp_lt_i32_e64 s[2:3], v20, v17
	s_and_b64 s[0:1], s[0:1], s[2:3]
	s_andn2_b64 s[2:3], s[16:17], exec
	s_and_b64 s[0:1], s[0:1], exec
	s_or_b64 s[16:17], s[2:3], s[0:1]
	s_or_b64 exec, exec, s[18:19]
	s_and_saveexec_b64 s[0:1], s[16:17]
	s_cbranch_execz .LBB63_29
.LBB63_34:                              ;   in Loop: Header=BB63_7 Depth=1
	v_mov_b32_e32 v18, v19
	s_waitcnt lgkmcnt(0)
	v_mov_b32_e32 v17, v20
	s_or_b64 exec, exec, s[0:1]
	s_and_saveexec_b64 s[16:17], vcc
	s_cbranch_execnz .LBB63_30
	s_branch .LBB63_31
.LBB63_35:
	s_endpgm
	.section	.rodata,"a",@progbits
	.p2align	6, 0x0
	.amdhsa_kernel _ZN4vllm3moe17topkGatingSoftmaxILi8ELi512ELi4ELi16ELi64ElEEvPKfPKbPfiPT4_Piiii
		.amdhsa_group_segment_fixed_size 8192
		.amdhsa_private_segment_fixed_size 0
		.amdhsa_kernarg_size 60
		.amdhsa_user_sgpr_count 8
		.amdhsa_user_sgpr_private_segment_buffer 1
		.amdhsa_user_sgpr_dispatch_ptr 1
		.amdhsa_user_sgpr_queue_ptr 0
		.amdhsa_user_sgpr_kernarg_segment_ptr 1
		.amdhsa_user_sgpr_dispatch_id 0
		.amdhsa_user_sgpr_flat_scratch_init 0
		.amdhsa_user_sgpr_kernarg_preload_length 0
		.amdhsa_user_sgpr_kernarg_preload_offset 0
		.amdhsa_user_sgpr_private_segment_size 0
		.amdhsa_uses_dynamic_stack 0
		.amdhsa_system_sgpr_private_segment_wavefront_offset 0
		.amdhsa_system_sgpr_workgroup_id_x 1
		.amdhsa_system_sgpr_workgroup_id_y 0
		.amdhsa_system_sgpr_workgroup_id_z 0
		.amdhsa_system_sgpr_workgroup_info 0
		.amdhsa_system_vgpr_workitem_id 2
		.amdhsa_next_free_vgpr 39
		.amdhsa_next_free_sgpr 21
		.amdhsa_accum_offset 40
		.amdhsa_reserve_vcc 1
		.amdhsa_reserve_flat_scratch 0
		.amdhsa_float_round_mode_32 0
		.amdhsa_float_round_mode_16_64 0
		.amdhsa_float_denorm_mode_32 3
		.amdhsa_float_denorm_mode_16_64 3
		.amdhsa_dx10_clamp 1
		.amdhsa_ieee_mode 1
		.amdhsa_fp16_overflow 0
		.amdhsa_tg_split 0
		.amdhsa_exception_fp_ieee_invalid_op 0
		.amdhsa_exception_fp_denorm_src 0
		.amdhsa_exception_fp_ieee_div_zero 0
		.amdhsa_exception_fp_ieee_overflow 0
		.amdhsa_exception_fp_ieee_underflow 0
		.amdhsa_exception_fp_ieee_inexact 0
		.amdhsa_exception_int_div_zero 0
	.end_amdhsa_kernel
	.section	.text._ZN4vllm3moe17topkGatingSoftmaxILi8ELi512ELi4ELi16ELi64ElEEvPKfPKbPfiPT4_Piiii,"axG",@progbits,_ZN4vllm3moe17topkGatingSoftmaxILi8ELi512ELi4ELi16ELi64ElEEvPKfPKbPfiPT4_Piiii,comdat
.Lfunc_end63:
	.size	_ZN4vllm3moe17topkGatingSoftmaxILi8ELi512ELi4ELi16ELi64ElEEvPKfPKbPfiPT4_Piiii, .Lfunc_end63-_ZN4vllm3moe17topkGatingSoftmaxILi8ELi512ELi4ELi16ELi64ElEEvPKfPKbPfiPT4_Piiii
                                        ; -- End function
	.section	.AMDGPU.csdata,"",@progbits
; Kernel info:
; codeLenInByte = 2672
; NumSgprs: 25
; NumVgprs: 39
; NumAgprs: 0
; TotalNumVgprs: 39
; ScratchSize: 0
; MemoryBound: 0
; FloatMode: 240
; IeeeMode: 1
; LDSByteSize: 8192 bytes/workgroup (compile time only)
; SGPRBlocks: 3
; VGPRBlocks: 4
; NumSGPRsForWavesPerEU: 25
; NumVGPRsForWavesPerEU: 39
; AccumOffset: 40
; Occupancy: 8
; WaveLimiterHint : 0
; COMPUTE_PGM_RSRC2:SCRATCH_EN: 0
; COMPUTE_PGM_RSRC2:USER_SGPR: 8
; COMPUTE_PGM_RSRC2:TRAP_HANDLER: 0
; COMPUTE_PGM_RSRC2:TGID_X_EN: 1
; COMPUTE_PGM_RSRC2:TGID_Y_EN: 0
; COMPUTE_PGM_RSRC2:TGID_Z_EN: 0
; COMPUTE_PGM_RSRC2:TIDIG_COMP_CNT: 2
; COMPUTE_PGM_RSRC3_GFX90A:ACCUM_OFFSET: 9
; COMPUTE_PGM_RSRC3_GFX90A:TG_SPLIT: 0
	.section	.text._ZN4vllm3moe17topkGatingSoftmaxILi16ELi512ELi4ELi16ELi32ElEEvPKfPKbPfiPT4_Piiii,"axG",@progbits,_ZN4vllm3moe17topkGatingSoftmaxILi16ELi512ELi4ELi16ELi32ElEEvPKfPKbPfiPT4_Piiii,comdat
	.protected	_ZN4vllm3moe17topkGatingSoftmaxILi16ELi512ELi4ELi16ELi32ElEEvPKfPKbPfiPT4_Piiii ; -- Begin function _ZN4vllm3moe17topkGatingSoftmaxILi16ELi512ELi4ELi16ELi32ElEEvPKfPKbPfiPT4_Piiii
	.globl	_ZN4vllm3moe17topkGatingSoftmaxILi16ELi512ELi4ELi16ELi32ElEEvPKfPKbPfiPT4_Piiii
	.p2align	8
	.type	_ZN4vllm3moe17topkGatingSoftmaxILi16ELi512ELi4ELi16ELi32ElEEvPKfPKbPfiPT4_Piiii,@function
_ZN4vllm3moe17topkGatingSoftmaxILi16ELi512ELi4ELi16ELi32ElEEvPKfPKbPfiPT4_Piiii: ; @_ZN4vllm3moe17topkGatingSoftmaxILi16ELi512ELi4ELi16ELi32ElEEvPKfPKbPfiPT4_Piiii
; %bb.0:
	s_load_dword s24, s[4:5], 0x18
	s_add_u32 s0, s0, s9
	v_and_b32_e32 v1, 0x3ff, v0
	s_addc_u32 s1, s1, 0
	s_lshl_b32 s6, s8, 2
	v_lshrrev_b32_e32 v2, 5, v1
	v_bfe_u32 v0, v0, 10, 10
	v_add3_u32 v17, s6, v0, v2
	s_waitcnt lgkmcnt(0)
	v_cmp_gt_i32_e32 vcc, s24, v17
	s_and_saveexec_b64 s[6:7], vcc
	s_cbranch_execz .LBB64_31
; %bb.1:
	s_load_dwordx4 s[8:11], s[4:5], 0x0
	s_load_dwordx2 s[16:17], s[4:5], 0x10
	s_waitcnt lgkmcnt(0)
	s_cmp_eq_u64 s[10:11], 0
	s_cbranch_scc1 .LBB64_3
; %bb.2:
	v_ashrrev_i32_e32 v0, 31, v17
	v_mov_b32_e32 v3, s11
	v_add_co_u32_e32 v2, vcc, s10, v17
	v_addc_co_u32_e32 v3, vcc, v3, v0, vcc
	global_load_ubyte v0, v[2:3], off
	s_waitcnt vmcnt(0)
	v_and_b32_e32 v0, 1, v0
	v_cmp_eq_u32_e32 vcc, 1, v0
	s_xor_b64 s[6:7], vcc, -1
	s_orn2_b64 s[18:19], s[6:7], exec
	s_branch .LBB64_4
.LBB64_3:
	s_mov_b64 s[18:19], -1
.LBB64_4:
	v_lshlrev_b32_e32 v2, 9, v17
	v_ashrrev_i32_e32 v3, 31, v2
	v_lshlrev_b64 v[2:3], 2, v[2:3]
	v_mov_b32_e32 v0, s9
	v_add_co_u32_e32 v2, vcc, s8, v2
	v_and_b32_e32 v24, 31, v1
	v_addc_co_u32_e32 v0, vcc, v0, v3, vcc
	v_lshlrev_b32_e32 v1, 4, v24
	v_add_co_u32_e32 v18, vcc, v2, v1
	v_addc_co_u32_e32 v19, vcc, 0, v0, vcc
	global_load_dwordx4 v[0:3], v[18:19], off
	global_load_dwordx4 v[4:7], v[18:19], off offset:512
	global_load_dwordx4 v[8:11], v[18:19], off offset:1024
	global_load_dwordx4 v[12:15], v[18:19], off offset:1536
	v_mbcnt_lo_u32_b32 v16, -1, 0
	v_mbcnt_hi_u32_b32 v16, -1, v16
	v_and_b32_e32 v18, 0x60, v16
	v_xor_b32_e32 v19, 16, v16
	v_add_u32_e32 v18, 32, v18
	v_cmp_lt_i32_e32 vcc, v19, v18
	v_cndmask_b32_e32 v19, v16, v19, vcc
	v_lshlrev_b32_e32 v25, 2, v19
	v_xor_b32_e32 v21, 8, v16
	v_cmp_lt_i32_e32 vcc, v21, v18
	v_cndmask_b32_e32 v21, v16, v21, vcc
	v_lshlrev_b32_e32 v26, 2, v21
	v_xor_b32_e32 v21, 4, v16
	v_cmp_lt_i32_e32 vcc, v21, v18
	v_cndmask_b32_e32 v21, v16, v21, vcc
	v_lshlrev_b32_e32 v27, 2, v21
	v_xor_b32_e32 v21, 2, v16
	v_cmp_lt_i32_e32 vcc, v21, v18
	v_cndmask_b32_e32 v21, v16, v21, vcc
	v_lshlrev_b32_e32 v28, 2, v21
	v_xor_b32_e32 v21, 1, v16
	v_cmp_lt_i32_e32 vcc, v21, v18
	v_cndmask_b32_e32 v16, v16, v21, vcc
	v_lshlrev_b32_e32 v29, 2, v16
	s_mov_b32 s7, 0x3fb8aa3b
	s_mov_b32 s6, 0xc2ce8ed0
	;; [unrolled: 1-line block ×3, first 2 shown]
	v_mov_b32_e32 v40, 0x7f800000
	s_waitcnt vmcnt(3)
	buffer_store_dword v3, off, s[0:3], 0 offset:12
	buffer_store_dword v2, off, s[0:3], 0 offset:8
	v_max_f32_e32 v19, v1, v1
	v_max_f32_e32 v20, v0, v0
	;; [unrolled: 1-line block ×3, first 2 shown]
	v_max3_f32 v19, v19, v2, v3
	s_waitcnt vmcnt(4)
	v_max3_f32 v19, v19, v4, v5
	v_max3_f32 v19, v19, v6, v7
	s_waitcnt vmcnt(3)
	v_max3_f32 v19, v19, v8, v9
	;; [unrolled: 3-line block ×3, first 2 shown]
	v_max3_f32 v19, v19, v14, v15
	ds_bpermute_b32 v20, v25, v19
	buffer_store_dword v1, off, s[0:3], 0 offset:4
	buffer_store_dword v0, off, s[0:3], 0
	buffer_store_dword v7, off, s[0:3], 0 offset:28
	buffer_store_dword v6, off, s[0:3], 0 offset:24
	;; [unrolled: 1-line block ×12, first 2 shown]
	s_waitcnt lgkmcnt(0)
	v_max_f32_e32 v20, v20, v20
	v_max_f32_e32 v19, v19, v20
	ds_bpermute_b32 v20, v26, v19
	s_waitcnt lgkmcnt(0)
	v_max_f32_e32 v20, v20, v20
	v_max_f32_e32 v19, v19, v20
	ds_bpermute_b32 v20, v27, v19
	;; [unrolled: 4-line block ×4, first 2 shown]
	s_waitcnt lgkmcnt(0)
	v_max_f32_e32 v18, v18, v18
	v_max_f32_e32 v16, v16, v18
	v_pk_add_f32 v[18:19], v[2:3], v[16:17] op_sel_hi:[1,0] neg_lo:[0,1] neg_hi:[0,1]
	v_mul_f32_e32 v30, 0x3fb8aa3b, v19
	v_pk_add_f32 v[20:21], v[4:5], v[16:17] op_sel_hi:[1,0] neg_lo:[0,1] neg_hi:[0,1]
	v_mul_f32_e32 v31, 0x3fb8aa3b, v18
	v_fma_f32 v36, v19, s7, -v30
	v_rndne_f32_e32 v37, v30
	v_mul_f32_e32 v32, 0x3fb8aa3b, v21
	v_fma_f32 v38, v18, s7, -v31
	v_rndne_f32_e32 v39, v31
	v_fmac_f32_e32 v36, 0x32a5705f, v19
	v_sub_f32_e32 v30, v30, v37
	v_mul_f32_e32 v33, 0x3fb8aa3b, v20
	v_fma_f32 v41, v21, s7, -v32
	v_rndne_f32_e32 v42, v32
	v_fmac_f32_e32 v38, 0x32a5705f, v18
	v_sub_f32_e32 v31, v31, v39
	v_add_f32_e32 v30, v30, v36
	v_fma_f32 v43, v20, s7, -v33
	v_rndne_f32_e32 v44, v33
	v_cvt_i32_f32_e32 v37, v37
	v_fmac_f32_e32 v41, 0x32a5705f, v21
	v_sub_f32_e32 v32, v32, v42
	v_add_f32_e32 v31, v31, v38
	v_exp_f32_e32 v30, v30
	v_cvt_i32_f32_e32 v39, v39
	v_fmac_f32_e32 v43, 0x32a5705f, v20
	v_sub_f32_e32 v33, v33, v44
	v_add_f32_e32 v32, v32, v41
	v_exp_f32_e32 v31, v31
	v_cvt_i32_f32_e32 v42, v42
	v_add_f32_e32 v33, v33, v43
	v_exp_f32_e32 v32, v32
	v_pk_add_f32 v[22:23], v[6:7], v[16:17] op_sel_hi:[1,0] neg_lo:[0,1] neg_hi:[0,1]
	v_cvt_i32_f32_e32 v44, v44
	v_exp_f32_e32 v33, v33
	v_mul_f32_e32 v34, 0x3fb8aa3b, v23
	v_ldexp_f32 v30, v30, v37
	v_cmp_ngt_f32_e32 vcc, s6, v19
	v_fma_f32 v45, v23, s7, -v34
	v_rndne_f32_e32 v46, v34
	v_ldexp_f32 v31, v31, v39
	v_cndmask_b32_e32 v30, 0, v30, vcc
	v_cmp_ngt_f32_e32 vcc, s6, v18
	v_mul_f32_e32 v35, 0x3fb8aa3b, v22
	v_fmac_f32_e32 v45, 0x32a5705f, v23
	v_sub_f32_e32 v34, v34, v46
	v_ldexp_f32 v32, v32, v42
	v_cndmask_b32_e32 v31, 0, v31, vcc
	v_cmp_ngt_f32_e32 vcc, s6, v21
	v_fma_f32 v47, v22, s7, -v35
	v_rndne_f32_e32 v48, v35
	v_add_f32_e32 v34, v34, v45
	v_ldexp_f32 v33, v33, v44
	v_cndmask_b32_e32 v32, 0, v32, vcc
	v_cmp_ngt_f32_e32 vcc, s6, v20
	v_cvt_i32_f32_e32 v46, v46
	v_fmac_f32_e32 v47, 0x32a5705f, v22
	v_sub_f32_e32 v35, v35, v48
	v_exp_f32_e32 v34, v34
	v_cndmask_b32_e32 v33, 0, v33, vcc
	v_cmp_nlt_f32_e32 vcc, s8, v19
	v_add_f32_e32 v35, v35, v47
	v_cndmask_b32_e32 v19, v40, v30, vcc
	v_cmp_nlt_f32_e32 vcc, s8, v18
	v_cndmask_b32_e32 v18, v40, v31, vcc
	v_cmp_nlt_f32_e32 vcc, s8, v21
	v_exp_f32_e32 v30, v35
	v_cvt_i32_f32_e32 v31, v48
	v_cndmask_b32_e32 v21, v40, v32, vcc
	v_cmp_nlt_f32_e32 vcc, s8, v20
	v_ldexp_f32 v34, v34, v46
	v_cndmask_b32_e32 v20, v40, v33, vcc
	v_cmp_ngt_f32_e32 vcc, s6, v23
	v_cndmask_b32_e32 v32, 0, v34, vcc
	v_cmp_nlt_f32_e32 vcc, s8, v23
	v_cndmask_b32_e32 v23, v40, v32, vcc
	v_ldexp_f32 v32, v30, v31
	v_pk_add_f32 v[30:31], v[8:9], v[16:17] op_sel_hi:[1,0] neg_lo:[0,1] neg_hi:[0,1]
	v_mul_f32_e32 v33, 0x3fb8aa3b, v31
	v_fma_f32 v34, v31, s7, -v33
	v_rndne_f32_e32 v35, v33
	v_fmac_f32_e32 v34, 0x32a5705f, v31
	v_sub_f32_e32 v33, v33, v35
	v_add_f32_e32 v33, v33, v34
	v_exp_f32_e32 v33, v33
	v_cvt_i32_f32_e32 v34, v35
	v_cmp_ngt_f32_e32 vcc, s6, v22
	v_cndmask_b32_e32 v32, 0, v32, vcc
	v_cmp_nlt_f32_e32 vcc, s8, v22
	v_cndmask_b32_e32 v22, v40, v32, vcc
	v_ldexp_f32 v32, v33, v34
	v_mul_f32_e32 v33, 0x3fb8aa3b, v30
	v_fma_f32 v34, v30, s7, -v33
	v_rndne_f32_e32 v35, v33
	v_fmac_f32_e32 v34, 0x32a5705f, v30
	v_sub_f32_e32 v33, v33, v35
	v_add_f32_e32 v33, v33, v34
	v_exp_f32_e32 v33, v33
	v_cvt_i32_f32_e32 v34, v35
	v_cmp_ngt_f32_e32 vcc, s6, v31
	v_cndmask_b32_e32 v32, 0, v32, vcc
	v_cmp_nlt_f32_e32 vcc, s8, v31
	v_cndmask_b32_e32 v31, v40, v32, vcc
	v_ldexp_f32 v34, v33, v34
	v_pk_add_f32 v[32:33], v[10:11], v[16:17] op_sel_hi:[1,0] neg_lo:[0,1] neg_hi:[0,1]
	v_mul_f32_e32 v35, 0x3fb8aa3b, v33
	v_fma_f32 v36, v33, s7, -v35
	v_rndne_f32_e32 v37, v35
	v_fmac_f32_e32 v36, 0x32a5705f, v33
	v_sub_f32_e32 v35, v35, v37
	v_add_f32_e32 v35, v35, v36
	v_exp_f32_e32 v35, v35
	v_cvt_i32_f32_e32 v36, v37
	v_cmp_ngt_f32_e32 vcc, s6, v30
	v_cndmask_b32_e32 v34, 0, v34, vcc
	v_cmp_nlt_f32_e32 vcc, s8, v30
	v_cndmask_b32_e32 v30, v40, v34, vcc
	v_ldexp_f32 v34, v35, v36
	v_mul_f32_e32 v35, 0x3fb8aa3b, v32
	v_fma_f32 v36, v32, s7, -v35
	v_rndne_f32_e32 v37, v35
	v_fmac_f32_e32 v36, 0x32a5705f, v32
	v_sub_f32_e32 v35, v35, v37
	v_add_f32_e32 v35, v35, v36
	v_exp_f32_e32 v35, v35
	v_cvt_i32_f32_e32 v36, v37
	;; [unrolled: 27-line block ×4, first 2 shown]
	v_cmp_ngt_f32_e32 vcc, s6, v37
	v_cndmask_b32_e32 v38, 0, v38, vcc
	v_cmp_nlt_f32_e32 vcc, s8, v37
	v_cndmask_b32_e32 v37, v40, v38, vcc
	v_ldexp_f32 v41, v39, v41
	v_pk_add_f32 v[38:39], v[14:15], v[16:17] op_sel_hi:[1,0] neg_lo:[0,1] neg_hi:[0,1]
	v_mul_f32_e32 v16, 0x3fb8aa3b, v39
	v_fma_f32 v42, v39, s7, -v16
	v_rndne_f32_e32 v43, v16
	v_fmac_f32_e32 v42, 0x32a5705f, v39
	v_sub_f32_e32 v16, v16, v43
	v_add_f32_e32 v16, v16, v42
	v_exp_f32_e32 v16, v16
	v_cvt_i32_f32_e32 v42, v43
	v_cmp_ngt_f32_e32 vcc, s6, v36
	v_cndmask_b32_e32 v41, 0, v41, vcc
	v_cmp_nlt_f32_e32 vcc, s8, v36
	v_cndmask_b32_e32 v36, v40, v41, vcc
	v_mul_f32_e32 v41, 0x3fb8aa3b, v38
	v_ldexp_f32 v16, v16, v42
	v_fma_f32 v42, v38, s7, -v41
	v_rndne_f32_e32 v43, v41
	v_fmac_f32_e32 v42, 0x32a5705f, v38
	v_sub_f32_e32 v41, v41, v43
	v_add_f32_e32 v41, v41, v42
	v_exp_f32_e32 v41, v41
	v_cvt_i32_f32_e32 v42, v43
	v_cmp_ngt_f32_e32 vcc, s6, v39
	v_cndmask_b32_e32 v16, 0, v16, vcc
	v_cmp_nlt_f32_e32 vcc, s8, v39
	v_cndmask_b32_e32 v39, v40, v16, vcc
	v_ldexp_f32 v16, v41, v42
	v_cmp_ngt_f32_e32 vcc, s6, v38
	v_cndmask_b32_e32 v16, 0, v16, vcc
	v_cmp_nlt_f32_e32 vcc, s8, v38
	v_cndmask_b32_e32 v38, v40, v16, vcc
	v_add_f32_e32 v16, v34, v35
	v_add_f32_e32 v16, v16, v18
	;; [unrolled: 1-line block ×15, first 2 shown]
	ds_bpermute_b32 v40, v25, v16
	s_load_dwordx4 s[8:11], s[4:5], 0x30
	s_waitcnt lgkmcnt(0)
	s_mov_b32 s11, 0
	v_add_f32_e32 v16, v16, v40
	ds_bpermute_b32 v40, v26, v16
	s_cmp_lt_i32 s8, 1
	s_waitcnt lgkmcnt(0)
	v_add_f32_e32 v2, v16, v40
	ds_bpermute_b32 v3, v27, v2
	s_waitcnt lgkmcnt(0)
	v_add_f32_e32 v0, v2, v3
	ds_bpermute_b32 v1, v28, v0
	;; [unrolled: 3-line block ×3, first 2 shown]
	s_waitcnt lgkmcnt(0)
	v_add_f32_e32 v0, v0, v1
	v_div_scale_f32 v1, s[6:7], v0, v0, 1.0
	v_rcp_f32_e32 v2, v1
	v_fma_f32 v3, -v1, v2, 1.0
	v_fmac_f32_e32 v2, v3, v2
	v_div_scale_f32 v3, vcc, 1.0, v0, 1.0
	v_mul_f32_e32 v4, v3, v2
	v_fma_f32 v5, -v1, v4, v3
	v_fmac_f32_e32 v4, v5, v2
	v_fma_f32 v1, -v1, v4, v3
	v_div_fmas_f32 v1, v1, v2, v4
	v_div_fixup_f32 v0, v1, v0, 1.0
	v_pk_mul_f32 v[2:3], v[0:1], v[34:35] op_sel_hi:[0,1]
	buffer_store_dword v3, off, s[0:3], 0 offset:4
	buffer_store_dword v2, off, s[0:3], 0
	v_pk_mul_f32 v[2:3], v[0:1], v[18:19] op_sel_hi:[0,1]
	buffer_store_dword v3, off, s[0:3], 0 offset:12
	buffer_store_dword v2, off, s[0:3], 0 offset:8
	v_pk_mul_f32 v[2:3], v[0:1], v[20:21] op_sel_hi:[0,1]
	buffer_store_dword v3, off, s[0:3], 0 offset:20
	buffer_store_dword v2, off, s[0:3], 0 offset:16
	;; [unrolled: 3-line block ×5, first 2 shown]
	v_pk_mul_f32 v[2:3], v[0:1], v[36:37] op_sel_hi:[0,1]
	v_pk_mul_f32 v[0:1], v[0:1], v[38:39] op_sel_hi:[0,1]
	buffer_store_dword v3, off, s[0:3], 0 offset:52
	buffer_store_dword v2, off, s[0:3], 0 offset:48
	buffer_store_dword v1, off, s[0:3], 0 offset:60
	buffer_store_dword v0, off, s[0:3], 0 offset:56
	s_cbranch_scc1 .LBB64_31
; %bb.5:
	s_load_dwordx4 s[12:15], s[4:5], 0x20
	v_lshlrev_b32_e32 v0, 2, v24
	v_cmp_eq_u32_e32 vcc, 0, v24
	v_mul_lo_u32 v1, v17, s8
	v_mov_b32_e32 v2, 0
	v_mov_b32_e32 v3, 0xc61c4000
	;; [unrolled: 1-line block ×8, first 2 shown]
	v_bfrev_b32_e32 v10, 4.0
	v_bfrev_b32_e32 v11, -4.0
	v_mov_b32_e32 v12, 0x180
	v_mov_b32_e32 v13, 0x181
	v_mov_b32_e32 v14, 0x182
	v_mov_b32_e32 v15, 0x183
	v_mov_b32_e32 v16, 0x200
	s_branch .LBB64_7
.LBB64_6:                               ;   in Loop: Header=BB64_7 Depth=1
	s_or_b64 exec, exec, s[4:5]
	s_cmp_eq_u32 s8, s11
	v_add_u32_e32 v17, s24, v17
	s_cbranch_scc1 .LBB64_31
.LBB64_7:                               ; =>This Inner Loop Header: Depth=1
	buffer_load_dword v18, off, s[0:3], 0
	buffer_load_dword v19, off, s[0:3], 0 offset:4
	buffer_load_dword v20, off, s[0:3], 0 offset:8
	;; [unrolled: 1-line block ×15, first 2 shown]
	s_waitcnt vmcnt(14)
	v_cmp_gt_f32_e64 s[4:5], v19, v18
	v_cndmask_b32_e64 v18, v18, v19, s[4:5]
	v_cndmask_b32_e64 v19, 0, 1, s[4:5]
	s_waitcnt vmcnt(13)
	v_cmp_gt_f32_e64 s[4:5], v20, v18
	v_cndmask_b32_e64 v18, v18, v20, s[4:5]
	v_cndmask_b32_e64 v19, v19, 2, s[4:5]
	;; [unrolled: 4-line block ×15, first 2 shown]
	ds_bpermute_b32 v20, v25, v19
	v_or_b32_e32 v18, v0, v18
	ds_bpermute_b32 v21, v25, v18
	s_waitcnt lgkmcnt(0)
	v_cmp_lt_f32_e64 s[20:21], v19, v20
	v_cmp_nlt_f32_e64 s[4:5], v19, v20
	s_and_saveexec_b64 s[22:23], s[4:5]
; %bb.8:                                ;   in Loop: Header=BB64_7 Depth=1
	v_cmp_eq_f32_e64 s[4:5], v19, v20
	v_cmp_lt_i32_e64 s[6:7], v21, v18
	s_and_b64 s[4:5], s[4:5], s[6:7]
	s_andn2_b64 s[6:7], s[20:21], exec
	s_and_b64 s[4:5], s[4:5], exec
	s_or_b64 s[20:21], s[6:7], s[4:5]
; %bb.9:                                ;   in Loop: Header=BB64_7 Depth=1
	s_or_b64 exec, exec, s[22:23]
	s_and_saveexec_b64 s[4:5], s[20:21]
; %bb.10:                               ;   in Loop: Header=BB64_7 Depth=1
	v_mov_b32_e32 v19, v20
	v_mov_b32_e32 v18, v21
; %bb.11:                               ;   in Loop: Header=BB64_7 Depth=1
	s_or_b64 exec, exec, s[4:5]
	ds_bpermute_b32 v21, v26, v19
	ds_bpermute_b32 v20, v26, v18
	s_waitcnt lgkmcnt(1)
	v_cmp_lt_f32_e64 s[20:21], v19, v21
	v_cmp_nlt_f32_e64 s[4:5], v19, v21
	s_and_saveexec_b64 s[22:23], s[4:5]
	s_cbranch_execz .LBB64_13
; %bb.12:                               ;   in Loop: Header=BB64_7 Depth=1
	v_cmp_eq_f32_e64 s[4:5], v19, v21
	s_waitcnt lgkmcnt(0)
	v_cmp_lt_i32_e64 s[6:7], v20, v18
	s_and_b64 s[4:5], s[4:5], s[6:7]
	s_andn2_b64 s[6:7], s[20:21], exec
	s_and_b64 s[4:5], s[4:5], exec
	s_or_b64 s[20:21], s[6:7], s[4:5]
.LBB64_13:                              ;   in Loop: Header=BB64_7 Depth=1
	s_or_b64 exec, exec, s[22:23]
	s_and_saveexec_b64 s[4:5], s[20:21]
	s_cbranch_execz .LBB64_15
; %bb.14:                               ;   in Loop: Header=BB64_7 Depth=1
	v_mov_b32_e32 v19, v21
	s_waitcnt lgkmcnt(0)
	v_mov_b32_e32 v18, v20
.LBB64_15:                              ;   in Loop: Header=BB64_7 Depth=1
	s_or_b64 exec, exec, s[4:5]
	ds_bpermute_b32 v21, v27, v19
	s_waitcnt lgkmcnt(1)
	ds_bpermute_b32 v20, v27, v18
	s_waitcnt lgkmcnt(1)
	v_cmp_lt_f32_e64 s[20:21], v19, v21
	v_cmp_nlt_f32_e64 s[4:5], v19, v21
	s_and_saveexec_b64 s[22:23], s[4:5]
	s_cbranch_execz .LBB64_17
; %bb.16:                               ;   in Loop: Header=BB64_7 Depth=1
	v_cmp_eq_f32_e64 s[4:5], v19, v21
	s_waitcnt lgkmcnt(0)
	v_cmp_lt_i32_e64 s[6:7], v20, v18
	s_and_b64 s[4:5], s[4:5], s[6:7]
	s_andn2_b64 s[6:7], s[20:21], exec
	s_and_b64 s[4:5], s[4:5], exec
	s_or_b64 s[20:21], s[6:7], s[4:5]
.LBB64_17:                              ;   in Loop: Header=BB64_7 Depth=1
	s_or_b64 exec, exec, s[22:23]
	s_and_saveexec_b64 s[4:5], s[20:21]
	s_cbranch_execz .LBB64_19
; %bb.18:                               ;   in Loop: Header=BB64_7 Depth=1
	v_mov_b32_e32 v19, v21
	s_waitcnt lgkmcnt(0)
	v_mov_b32_e32 v18, v20
.LBB64_19:                              ;   in Loop: Header=BB64_7 Depth=1
	s_or_b64 exec, exec, s[4:5]
	ds_bpermute_b32 v21, v28, v19
	s_waitcnt lgkmcnt(1)
	ds_bpermute_b32 v20, v28, v18
	s_waitcnt lgkmcnt(1)
	v_cmp_lt_f32_e64 s[20:21], v19, v21
	v_cmp_nlt_f32_e64 s[4:5], v19, v21
	s_and_saveexec_b64 s[22:23], s[4:5]
	s_cbranch_execz .LBB64_21
; %bb.20:                               ;   in Loop: Header=BB64_7 Depth=1
	v_cmp_eq_f32_e64 s[4:5], v19, v21
	s_waitcnt lgkmcnt(0)
	v_cmp_lt_i32_e64 s[6:7], v20, v18
	s_and_b64 s[4:5], s[4:5], s[6:7]
	s_andn2_b64 s[6:7], s[20:21], exec
	s_and_b64 s[4:5], s[4:5], exec
	s_or_b64 s[20:21], s[6:7], s[4:5]
.LBB64_21:                              ;   in Loop: Header=BB64_7 Depth=1
	s_or_b64 exec, exec, s[22:23]
	s_and_saveexec_b64 s[4:5], s[20:21]
	s_cbranch_execz .LBB64_23
; %bb.22:                               ;   in Loop: Header=BB64_7 Depth=1
	v_mov_b32_e32 v19, v21
	s_waitcnt lgkmcnt(0)
	v_mov_b32_e32 v18, v20
.LBB64_23:                              ;   in Loop: Header=BB64_7 Depth=1
	s_or_b64 exec, exec, s[4:5]
	s_waitcnt lgkmcnt(0)
	ds_bpermute_b32 v20, v29, v19
	ds_bpermute_b32 v21, v29, v18
	s_waitcnt lgkmcnt(1)
	v_cmp_lt_f32_e64 s[20:21], v19, v20
	v_cmp_nlt_f32_e64 s[4:5], v19, v20
	s_and_saveexec_b64 s[22:23], s[4:5]
	s_cbranch_execnz .LBB64_29
; %bb.24:                               ;   in Loop: Header=BB64_7 Depth=1
	s_or_b64 exec, exec, s[22:23]
	s_and_saveexec_b64 s[4:5], s[20:21]
	s_cbranch_execnz .LBB64_30
.LBB64_25:                              ;   in Loop: Header=BB64_7 Depth=1
	s_or_b64 exec, exec, s[4:5]
	s_and_saveexec_b64 s[20:21], vcc
	s_cbranch_execz .LBB64_27
.LBB64_26:                              ;   in Loop: Header=BB64_7 Depth=1
	v_add_u32_e32 v20, s11, v1
	s_waitcnt lgkmcnt(0)
	v_ashrrev_i32_e32 v21, 31, v20
	v_cmp_le_i32_e64 s[4:5], s9, v18
	v_cmp_gt_i32_e64 s[6:7], s10, v18
	v_lshlrev_b64 v[22:23], 2, v[20:21]
	s_and_b64 s[6:7], s[4:5], s[6:7]
	v_mov_b32_e32 v31, s17
	v_add_co_u32_e64 v30, s[4:5], s16, v22
	v_addc_co_u32_e64 v31, s[4:5], v31, v23, s[4:5]
	global_store_dword v[30:31], v19, off
	v_subrev_u32_e32 v19, s9, v18
	v_ashrrev_i32_e32 v30, 31, v19
	s_and_b64 s[4:5], s[18:19], s[6:7]
	v_lshlrev_b64 v[20:21], 3, v[20:21]
	v_cndmask_b32_e64 v31, 0, v30, s[4:5]
	v_cndmask_b32_e64 v30, v16, v19, s[4:5]
	v_mov_b32_e32 v19, s13
	v_add_co_u32_e64 v20, s[4:5], s12, v20
	v_addc_co_u32_e64 v21, s[4:5], v19, v21, s[4:5]
	global_store_dwordx2 v[20:21], v[30:31], off
	v_mov_b32_e32 v19, s15
	v_add_co_u32_e64 v20, s[4:5], s14, v22
	v_addc_co_u32_e64 v21, s[4:5], v19, v23, s[4:5]
	global_store_dword v[20:21], v17, off
.LBB64_27:                              ;   in Loop: Header=BB64_7 Depth=1
	s_or_b64 exec, exec, s[20:21]
	v_ashrrev_i32_e32 v20, 31, v18
	v_lshrrev_b32_e32 v19, 30, v20
	s_waitcnt lgkmcnt(0)
	v_add_u32_e32 v21, v18, v19
	v_ashrrev_i32_e32 v19, 2, v21
	v_ashrrev_i32_e32 v21, 31, v21
	v_lshrrev_b32_e32 v21, 27, v21
	v_add_u32_e32 v21, v19, v21
	s_add_i32 s11, s11, 1
	v_and_b32_e32 v21, 0xffffffe0, v21
	s_cmp_lt_i32 s11, s8
	v_sub_u32_e32 v21, v19, v21
	s_cselect_b64 s[6:7], -1, 0
	v_cmp_eq_u32_e64 s[4:5], v24, v21
	s_and_b64 s[6:7], s[6:7], s[4:5]
	s_and_saveexec_b64 s[4:5], s[6:7]
	s_cbranch_execz .LBB64_6
; %bb.28:                               ;   in Loop: Header=BB64_7 Depth=1
	v_lshrrev_b32_e32 v20, 25, v20
	v_add_u32_e32 v20, v18, v20
	v_lshlrev_b32_e32 v19, 2, v19
	v_ashrrev_i32_e32 v20, 7, v20
	v_sub_u32_e32 v18, v18, v19
	v_lshl_add_u32 v18, v20, 2, v18
	v_lshl_add_u32 v18, v18, 2, v2
	buffer_store_dword v3, v18, s[0:3], 0 offen
	s_branch .LBB64_6
.LBB64_29:                              ;   in Loop: Header=BB64_7 Depth=1
	v_cmp_eq_f32_e64 s[4:5], v19, v20
	s_waitcnt lgkmcnt(0)
	v_cmp_lt_i32_e64 s[6:7], v21, v18
	s_and_b64 s[4:5], s[4:5], s[6:7]
	s_andn2_b64 s[6:7], s[20:21], exec
	s_and_b64 s[4:5], s[4:5], exec
	s_or_b64 s[20:21], s[6:7], s[4:5]
	s_or_b64 exec, exec, s[22:23]
	s_and_saveexec_b64 s[4:5], s[20:21]
	s_cbranch_execz .LBB64_25
.LBB64_30:                              ;   in Loop: Header=BB64_7 Depth=1
	v_mov_b32_e32 v19, v20
	s_waitcnt lgkmcnt(0)
	v_mov_b32_e32 v18, v21
	s_or_b64 exec, exec, s[4:5]
	s_and_saveexec_b64 s[20:21], vcc
	s_cbranch_execnz .LBB64_26
	s_branch .LBB64_27
.LBB64_31:
	s_endpgm
	.section	.rodata,"a",@progbits
	.p2align	6, 0x0
	.amdhsa_kernel _ZN4vllm3moe17topkGatingSoftmaxILi16ELi512ELi4ELi16ELi32ElEEvPKfPKbPfiPT4_Piiii
		.amdhsa_group_segment_fixed_size 0
		.amdhsa_private_segment_fixed_size 80
		.amdhsa_kernarg_size 60
		.amdhsa_user_sgpr_count 8
		.amdhsa_user_sgpr_private_segment_buffer 1
		.amdhsa_user_sgpr_dispatch_ptr 0
		.amdhsa_user_sgpr_queue_ptr 0
		.amdhsa_user_sgpr_kernarg_segment_ptr 1
		.amdhsa_user_sgpr_dispatch_id 0
		.amdhsa_user_sgpr_flat_scratch_init 1
		.amdhsa_user_sgpr_kernarg_preload_length 0
		.amdhsa_user_sgpr_kernarg_preload_offset 0
		.amdhsa_user_sgpr_private_segment_size 0
		.amdhsa_uses_dynamic_stack 0
		.amdhsa_system_sgpr_private_segment_wavefront_offset 1
		.amdhsa_system_sgpr_workgroup_id_x 1
		.amdhsa_system_sgpr_workgroup_id_y 0
		.amdhsa_system_sgpr_workgroup_id_z 0
		.amdhsa_system_sgpr_workgroup_info 0
		.amdhsa_system_vgpr_workitem_id 1
		.amdhsa_next_free_vgpr 49
		.amdhsa_next_free_sgpr 25
		.amdhsa_accum_offset 52
		.amdhsa_reserve_vcc 1
		.amdhsa_reserve_flat_scratch 0
		.amdhsa_float_round_mode_32 0
		.amdhsa_float_round_mode_16_64 0
		.amdhsa_float_denorm_mode_32 3
		.amdhsa_float_denorm_mode_16_64 3
		.amdhsa_dx10_clamp 1
		.amdhsa_ieee_mode 1
		.amdhsa_fp16_overflow 0
		.amdhsa_tg_split 0
		.amdhsa_exception_fp_ieee_invalid_op 0
		.amdhsa_exception_fp_denorm_src 0
		.amdhsa_exception_fp_ieee_div_zero 0
		.amdhsa_exception_fp_ieee_overflow 0
		.amdhsa_exception_fp_ieee_underflow 0
		.amdhsa_exception_fp_ieee_inexact 0
		.amdhsa_exception_int_div_zero 0
	.end_amdhsa_kernel
	.section	.text._ZN4vllm3moe17topkGatingSoftmaxILi16ELi512ELi4ELi16ELi32ElEEvPKfPKbPfiPT4_Piiii,"axG",@progbits,_ZN4vllm3moe17topkGatingSoftmaxILi16ELi512ELi4ELi16ELi32ElEEvPKfPKbPfiPT4_Piiii,comdat
.Lfunc_end64:
	.size	_ZN4vllm3moe17topkGatingSoftmaxILi16ELi512ELi4ELi16ELi32ElEEvPKfPKbPfiPT4_Piiii, .Lfunc_end64-_ZN4vllm3moe17topkGatingSoftmaxILi16ELi512ELi4ELi16ELi32ElEEvPKfPKbPfiPT4_Piiii
                                        ; -- End function
	.section	.AMDGPU.csdata,"",@progbits
; Kernel info:
; codeLenInByte = 3816
; NumSgprs: 29
; NumVgprs: 49
; NumAgprs: 0
; TotalNumVgprs: 49
; ScratchSize: 80
; MemoryBound: 0
; FloatMode: 240
; IeeeMode: 1
; LDSByteSize: 0 bytes/workgroup (compile time only)
; SGPRBlocks: 3
; VGPRBlocks: 6
; NumSGPRsForWavesPerEU: 29
; NumVGPRsForWavesPerEU: 49
; AccumOffset: 52
; Occupancy: 8
; WaveLimiterHint : 0
; COMPUTE_PGM_RSRC2:SCRATCH_EN: 1
; COMPUTE_PGM_RSRC2:USER_SGPR: 8
; COMPUTE_PGM_RSRC2:TRAP_HANDLER: 0
; COMPUTE_PGM_RSRC2:TGID_X_EN: 1
; COMPUTE_PGM_RSRC2:TGID_Y_EN: 0
; COMPUTE_PGM_RSRC2:TGID_Z_EN: 0
; COMPUTE_PGM_RSRC2:TIDIG_COMP_CNT: 1
; COMPUTE_PGM_RSRC3_GFX90A:ACCUM_OFFSET: 12
; COMPUTE_PGM_RSRC3_GFX90A:TG_SPLIT: 0
	.section	.text._ZN4vllm3moe7moeTopKILi256ElEEvPKfPKbPfPT0_Piiiii,"axG",@progbits,_ZN4vllm3moe7moeTopKILi256ElEEvPKfPKbPfPT0_Piiiii,comdat
	.protected	_ZN4vllm3moe7moeTopKILi256ElEEvPKfPKbPfPT0_Piiiii ; -- Begin function _ZN4vllm3moe7moeTopKILi256ElEEvPKfPKbPfPT0_Piiiii
	.globl	_ZN4vllm3moe7moeTopKILi256ElEEvPKfPKbPfPT0_Piiiii
	.p2align	8
	.type	_ZN4vllm3moe7moeTopKILi256ElEEvPKfPKbPfPT0_Piiiii,@function
_ZN4vllm3moe7moeTopKILi256ElEEvPKfPKbPfPT0_Piiiii: ; @_ZN4vllm3moe7moeTopKILi256ElEEvPKfPKbPfPT0_Piiiii
; %bb.0:
	s_load_dwordx8 s[20:27], s[4:5], 0x0
	s_add_u32 flat_scratch_lo, s6, s9
	s_addc_u32 flat_scratch_hi, s7, 0
	s_add_u32 s0, s0, s9
	s_addc_u32 s1, s1, 0
	s_waitcnt lgkmcnt(0)
	s_cmp_eq_u64 s[22:23], 0
	s_mov_b32 s32, 0
	s_cbranch_scc1 .LBB65_3
; %bb.1:
	s_ashr_i32 s7, s8, 31
	s_add_u32 s6, s22, s8
	s_addc_u32 s7, s23, s7
	v_mov_b32_e32 v1, 0
	global_load_ubyte v1, v1, s[6:7]
	s_waitcnt vmcnt(0)
	v_readfirstlane_b32 s6, v1
	s_bitcmp1_b32 s6, 0
	s_cselect_b64 s[6:7], -1, 0
	s_xor_b64 s[22:23], s[6:7], -1
	s_load_dwordx4 s[28:31], s[4:5], 0x28
	s_waitcnt lgkmcnt(0)
	s_cmp_lt_i32 s29, 1
	s_cbranch_scc0 .LBB65_4
.LBB65_2:
	s_endpgm
.LBB65_3:
	s_mov_b64 s[22:23], -1
	s_load_dwordx4 s[28:31], s[4:5], 0x28
	s_waitcnt lgkmcnt(0)
	s_cmp_lt_i32 s29, 1
	s_cbranch_scc1 .LBB65_2
.LBB65_4:
	v_mbcnt_lo_u32_b32 v1, -1, 0
	v_mbcnt_hi_u32_b32 v5, -1, v1
	v_and_b32_e32 v6, 3, v5
	v_cmp_ne_u32_e32 vcc, 3, v6
	s_load_dwordx2 s[34:35], s[4:5], 0x20
	s_load_dword s9, s[4:5], 0x38
	s_mul_i32 s36, s8, s29
	v_addc_co_u32_e32 v4, vcc, 0, v5, vcc
	v_cmp_gt_u32_e32 vcc, 2, v6
	s_ashr_i32 s37, s36, 31
	v_lshlrev_b32_e32 v3, 3, v6
	v_cndmask_b32_e64 v6, 0, 1, vcc
	s_lshl_b64 s[14:15], s[36:37], 3
	v_bfrev_b32_e32 v1, 0.5
	v_lshrrev_b32_e32 v2, 3, v0
	v_lshlrev_b32_e32 v6, 1, v6
	s_add_u32 s38, s26, s14
	s_mul_i32 s33, s8, s28
	v_cmp_gt_i32_e64 s[6:7], s28, v0
	s_mov_b32 s52, 0
	v_lshl_or_b32 v1, v5, 2, v1
	v_cmp_eq_u32_e64 s[16:17], 0, v5
	v_and_b32_e32 v2, 24, v2
	v_cmp_gt_u32_e64 s[10:11], 64, v0
	v_lshlrev_b32_e32 v4, 2, v4
	v_add_lshl_u32 v5, v6, v5, 2
	v_cmp_eq_u32_e64 s[12:13], 0, v0
	s_addc_u32 s39, s27, s15
	s_mov_b64 s[40:41], 0
	v_mov_b32_e32 v6, 0
                                        ; implicit-def: $sgpr42_sgpr43
                                        ; implicit-def: $sgpr44_sgpr45
	s_branch .LBB65_6
.LBB65_5:                               ;   in Loop: Header=BB65_6 Depth=1
	s_or_b64 exec, exec, s[46:47]
	s_and_b64 s[14:15], exec, s[18:19]
	s_or_b64 s[40:41], s[14:15], s[40:41]
	s_andn2_b64 s[14:15], s[42:43], exec
	s_and_b64 s[18:19], s[44:45], exec
	s_or_b64 s[42:43], s[14:15], s[18:19]
	s_andn2_b64 exec, exec, s[40:41]
	s_cbranch_execz .LBB65_26
.LBB65_6:                               ; =>This Loop Header: Depth=1
                                        ;     Child Loop BB65_9 Depth 2
                                        ;       Child Loop BB65_11 Depth 3
	v_mov_b32_e32 v7, -1.0
	v_mov_b32_e32 v8, 0
	s_and_saveexec_b64 s[46:47], s[6:7]
	s_cbranch_execz .LBB65_16
; %bb.7:                                ;   in Loop: Header=BB65_6 Depth=1
	s_cmp_lg_u32 s52, 0
	s_cselect_b64 s[14:15], -1, 0
	v_cndmask_b32_e64 v9, 0, 1, s[14:15]
	s_mov_b64 s[48:49], 0
	v_mov_b32_e32 v7, -1.0
	v_mov_b32_e32 v8, 0
	v_cmp_ne_u32_e64 s[14:15], 1, v9
	v_mov_b32_e32 v9, v0
	s_branch .LBB65_9
.LBB65_8:                               ;   in Loop: Header=BB65_9 Depth=2
	s_or_b64 exec, exec, s[50:51]
	v_add_u32_e32 v9, 0x100, v9
	v_cmp_le_i32_e32 vcc, s28, v9
	s_or_b64 s[48:49], vcc, s[48:49]
	s_andn2_b64 exec, exec, s[48:49]
	s_cbranch_execz .LBB65_15
.LBB65_9:                               ;   Parent Loop BB65_6 Depth=1
                                        ; =>  This Loop Header: Depth=2
                                        ;       Child Loop BB65_11 Depth 3
	v_add_u32_e32 v10, s33, v9
	v_ashrrev_i32_e32 v11, 31, v10
	v_lshlrev_b64 v[10:11], 2, v[10:11]
	v_mov_b32_e32 v12, s21
	v_add_co_u32_e32 v10, vcc, s20, v10
	v_addc_co_u32_e32 v11, vcc, v12, v11, vcc
	global_load_dword v10, v[10:11], off
	s_and_b64 vcc, exec, s[14:15]
	s_cbranch_vccnz .LBB65_13
; %bb.10:                               ;   in Loop: Header=BB65_9 Depth=2
	s_mov_b32 s37, 0
	s_mov_b64 s[18:19], s[38:39]
	v_mov_b32_e32 v11, v9
.LBB65_11:                              ;   Parent Loop BB65_6 Depth=1
                                        ;     Parent Loop BB65_9 Depth=2
                                        ; =>    This Inner Loop Header: Depth=3
	global_load_dword v12, v6, s[18:19]
	s_add_i32 s37, s37, 1
	s_add_u32 s18, s18, 8
	s_addc_u32 s19, s19, 0
	s_cmp_ge_u32 s37, s52
	s_waitcnt vmcnt(0)
	v_cmp_eq_u32_e32 vcc, v9, v12
	v_cndmask_b32_e32 v11, v11, v8, vcc
	v_cndmask_b32_e32 v10, v10, v7, vcc
	s_cbranch_scc0 .LBB65_11
; %bb.12:                               ;   in Loop: Header=BB65_9 Depth=2
	v_cmp_ngt_f32_e32 vcc, v7, v10
	s_and_saveexec_b64 s[50:51], vcc
	s_cbranch_execz .LBB65_8
	s_branch .LBB65_14
.LBB65_13:                              ;   in Loop: Header=BB65_9 Depth=2
	v_mov_b32_e32 v11, v9
	s_waitcnt vmcnt(0)
	v_cmp_ngt_f32_e32 vcc, v7, v10
	s_and_saveexec_b64 s[50:51], vcc
	s_cbranch_execz .LBB65_8
.LBB65_14:                              ;   in Loop: Header=BB65_9 Depth=2
	v_cmp_eq_f32_e32 vcc, v10, v7
	v_cmp_lt_i32_e64 s[18:19], v8, v11
	s_and_b64 vcc, vcc, s[18:19]
	v_cndmask_b32_e32 v7, v10, v7, vcc
	v_cndmask_b32_e32 v8, v11, v8, vcc
	s_branch .LBB65_8
.LBB65_15:                              ;   in Loop: Header=BB65_6 Depth=1
	s_or_b64 exec, exec, s[48:49]
.LBB65_16:                              ;   in Loop: Header=BB65_6 Depth=1
	s_or_b64 exec, exec, s[46:47]
	v_mov_b32_dpp v9, v8 quad_perm:[1,0,3,2] row_mask:0xf bank_mask:0xf
	v_mov_b32_dpp v10, v7 quad_perm:[1,0,3,2] row_mask:0xf bank_mask:0xf
	v_cmp_eq_f32_e32 vcc, v7, v10
	v_cmp_lt_i32_e64 s[14:15], v8, v9
	s_and_b64 vcc, vcc, s[14:15]
	v_cmp_gt_f32_e64 s[14:15], v7, v10
	v_cndmask_b32_e32 v11, v10, v7, vcc
	s_or_b64 vcc, s[14:15], vcc
	v_cndmask_b32_e64 v7, v11, v7, s[14:15]
	v_cndmask_b32_e32 v8, v9, v8, vcc
	s_nop 0
	v_mov_b32_dpp v10, v7 quad_perm:[2,3,0,1] row_mask:0xf bank_mask:0xf
	v_mov_b32_dpp v9, v8 quad_perm:[2,3,0,1] row_mask:0xf bank_mask:0xf
	v_cmp_eq_f32_e32 vcc, v7, v10
	v_cmp_lt_i32_e64 s[14:15], v8, v9
	s_and_b64 vcc, vcc, s[14:15]
	v_cmp_gt_f32_e64 s[14:15], v7, v10
	v_cndmask_b32_e32 v11, v10, v7, vcc
	s_or_b64 vcc, s[14:15], vcc
	v_cndmask_b32_e64 v7, v11, v7, s[14:15]
	v_cndmask_b32_e32 v8, v9, v8, vcc
	s_nop 0
	v_mov_b32_dpp v10, v7 row_ror:4 row_mask:0xf bank_mask:0xf
	v_mov_b32_dpp v9, v8 row_ror:4 row_mask:0xf bank_mask:0xf
	v_cmp_eq_f32_e32 vcc, v7, v10
	v_cmp_lt_i32_e64 s[14:15], v8, v9
	s_and_b64 vcc, vcc, s[14:15]
	v_cmp_gt_f32_e64 s[14:15], v7, v10
	v_cndmask_b32_e32 v11, v10, v7, vcc
	s_or_b64 vcc, s[14:15], vcc
	v_cndmask_b32_e64 v7, v11, v7, s[14:15]
	v_cndmask_b32_e32 v8, v9, v8, vcc
	s_nop 0
	v_mov_b32_dpp v10, v7 row_ror:8 row_mask:0xf bank_mask:0xf
	v_mov_b32_dpp v9, v8 row_ror:8 row_mask:0xf bank_mask:0xf
	v_cmp_eq_f32_e32 vcc, v7, v10
	v_cmp_lt_i32_e64 s[14:15], v8, v9
	s_and_b64 vcc, vcc, s[14:15]
	v_cmp_gt_f32_e64 s[14:15], v7, v10
	v_cndmask_b32_e32 v11, v10, v7, vcc
	s_or_b64 vcc, s[14:15], vcc
	v_cndmask_b32_e64 v7, v11, v7, s[14:15]
	v_cndmask_b32_e32 v8, v9, v8, vcc
	s_nop 0
	v_mov_b32_dpp v10, v7 row_bcast:15 row_mask:0xf bank_mask:0xf
	v_mov_b32_dpp v9, v8 row_bcast:15 row_mask:0xf bank_mask:0xf
	v_cmp_eq_f32_e32 vcc, v7, v10
	v_cmp_lt_i32_e64 s[14:15], v8, v9
	s_and_b64 vcc, vcc, s[14:15]
	v_cmp_gt_f32_e64 s[14:15], v7, v10
	v_cndmask_b32_e32 v11, v10, v7, vcc
	s_or_b64 vcc, s[14:15], vcc
	v_cndmask_b32_e64 v7, v11, v7, s[14:15]
	v_cndmask_b32_e32 v8, v9, v8, vcc
	s_nop 0
	v_mov_b32_dpp v10, v7 row_bcast:31 row_mask:0xf bank_mask:0xf
	v_mov_b32_dpp v9, v8 row_bcast:31 row_mask:0xf bank_mask:0xf
	v_cmp_eq_f32_e32 vcc, v7, v10
	v_cmp_lt_i32_e64 s[14:15], v8, v9
	s_and_b64 vcc, vcc, s[14:15]
	v_cmp_gt_f32_e64 s[14:15], v7, v10
	v_cndmask_b32_e32 v11, v10, v7, vcc
	s_or_b64 vcc, s[14:15], vcc
	v_cndmask_b32_e64 v7, v11, v7, s[14:15]
	v_cndmask_b32_e32 v8, v9, v8, vcc
	ds_bpermute_b32 v8, v1, v8
	ds_bpermute_b32 v7, v1, v7
	s_and_saveexec_b64 s[14:15], s[16:17]
	s_cbranch_execz .LBB65_18
; %bb.17:                               ;   in Loop: Header=BB65_6 Depth=1
	s_waitcnt lgkmcnt(0)
	ds_write2_b32 v2, v8, v7 offset1:1
.LBB65_18:                              ;   in Loop: Header=BB65_6 Depth=1
	s_or_b64 exec, exec, s[14:15]
	s_waitcnt lgkmcnt(0)
	s_barrier
	s_and_saveexec_b64 s[46:47], s[10:11]
	s_cbranch_execz .LBB65_20
; %bb.19:                               ;   in Loop: Header=BB65_6 Depth=1
	ds_read2_b32 v[8:9], v3 offset1:1
	s_waitcnt lgkmcnt(0)
	ds_bpermute_b32 v7, v4, v9
	ds_bpermute_b32 v10, v4, v8
	s_waitcnt lgkmcnt(1)
	v_cmp_eq_f32_e64 s[14:15], v9, v7
	s_waitcnt lgkmcnt(0)
	v_cmp_lt_i32_e64 s[18:19], v10, v8
	v_cmp_lt_f32_e32 vcc, v9, v7
	s_and_b64 s[14:15], s[14:15], s[18:19]
	s_or_b64 vcc, vcc, s[14:15]
	v_cndmask_b32_e32 v7, v9, v7, vcc
	v_cndmask_b32_e32 v8, v8, v10, vcc
	ds_bpermute_b32 v9, v5, v7
	ds_bpermute_b32 v10, v5, v8
	s_waitcnt lgkmcnt(1)
	v_cmp_eq_f32_e64 s[14:15], v7, v9
	s_waitcnt lgkmcnt(0)
	v_cmp_lt_i32_e64 s[18:19], v10, v8
	v_cmp_lt_f32_e32 vcc, v7, v9
	s_and_b64 s[14:15], s[14:15], s[18:19]
	s_or_b64 vcc, vcc, s[14:15]
	v_cndmask_b32_e32 v7, v7, v9, vcc
	v_cndmask_b32_e32 v8, v8, v10, vcc
.LBB65_20:                              ;   in Loop: Header=BB65_6 Depth=1
	s_or_b64 exec, exec, s[46:47]
	s_mov_b64 s[18:19], -1
	s_mov_b64 s[14:15], -1
                                        ; implicit-def: $sgpr50_sgpr51
	s_and_saveexec_b64 s[46:47], s[12:13]
	s_cbranch_execz .LBB65_24
; %bb.21:                               ;   in Loop: Header=BB65_6 Depth=1
	v_cmp_le_i32_e32 vcc, s30, v8
	v_cmp_gt_i32_e64 s[14:15], s31, v8
	s_add_i32 s50, s52, s36
	s_and_b64 s[48:49], vcc, s[14:15]
	s_ashr_i32 s51, s50, 31
	s_lshl_b64 s[14:15], s[50:51], 2
	s_and_b64 vcc, s[22:23], s[48:49]
	s_add_u32 s48, s24, s14
	s_addc_u32 s49, s25, s15
	v_subrev_u32_e32 v8, s30, v8
	v_mov_b32_e32 v9, s28
	global_store_dword v6, v7, s[48:49]
	s_lshl_b64 s[48:49], s[50:51], 3
	v_cndmask_b32_e32 v8, v9, v8, vcc
	s_add_u32 s48, s26, s48
	v_ashrrev_i32_e32 v9, 31, v8
	s_addc_u32 s49, s27, s49
	global_store_dwordx2 v6, v[8:9], s[48:49]
	v_cmp_lt_i32_e32 vcc, -1, v8
	s_mov_b64 s[48:49], 0
	s_and_saveexec_b64 s[50:51], vcc
	s_cbranch_execz .LBB65_23
; %bb.22:                               ;   in Loop: Header=BB65_6 Depth=1
	s_mul_i32 s37, s52, s9
	s_add_i32 s37, s37, s8
	s_add_u32 s14, s34, s14
	s_mov_b64 s[48:49], exec
	s_addc_u32 s15, s35, s15
	v_mov_b32_e32 v7, s37
	global_store_dword v6, v7, s[14:15]
.LBB65_23:                              ;   in Loop: Header=BB65_6 Depth=1
	s_or_b64 exec, exec, s[50:51]
	s_mov_b64 s[50:51], -1
	s_orn2_b64 s[14:15], s[48:49], exec
.LBB65_24:                              ;   in Loop: Header=BB65_6 Depth=1
	s_or_b64 exec, exec, s[46:47]
	s_andn2_b64 s[44:45], s[44:45], exec
	s_and_b64 s[46:47], s[50:51], exec
	s_or_b64 s[44:45], s[44:45], s[46:47]
	s_and_saveexec_b64 s[46:47], s[14:15]
	s_cbranch_execz .LBB65_5
; %bb.25:                               ;   in Loop: Header=BB65_6 Depth=1
	s_add_i32 s52, s52, 1
	s_cmp_eq_u32 s52, s29
	s_cselect_b64 s[14:15], -1, 0
	s_andn2_b64 s[44:45], s[44:45], exec
	s_orn2_b64 s[18:19], s[14:15], exec
	s_barrier
	s_branch .LBB65_5
.LBB65_26:
	s_or_b64 exec, exec, s[40:41]
	s_and_saveexec_b64 s[6:7], s[42:43]
	s_xor_b64 s[6:7], exec, s[6:7]
	s_cbranch_execz .LBB65_2
; %bb.27:
	s_add_u32 s8, s4, 56
	s_addc_u32 s9, s5, 0
	s_getpc_b64 s[4:5]
	s_add_u32 s4, s4, __PRETTY_FUNCTION__._ZN4vllm3moe7moeTopKILi256ElEEvPKfPKbPfPT0_Piiiii@rel32@lo+4
	s_addc_u32 s5, s5, __PRETTY_FUNCTION__._ZN4vllm3moe7moeTopKILi256ElEEvPKfPKbPfPT0_Piiiii@rel32@hi+12
	v_mov_b32_e32 v0, s4
	v_mov_b32_e32 v1, s5
	s_getpc_b64 s[6:7]
	s_add_u32 s6, s6, __assert_fail@rel32@lo+4
	s_addc_u32 s7, s7, __assert_fail@rel32@hi+12
	s_swappc_b64 s[30:31], s[6:7]
	; divergent unreachable
	s_endpgm
	.section	.rodata,"a",@progbits
	.p2align	6, 0x0
	.amdhsa_kernel _ZN4vllm3moe7moeTopKILi256ElEEvPKfPKbPfPT0_Piiiii
		.amdhsa_group_segment_fixed_size 32
		.amdhsa_private_segment_fixed_size 64
		.amdhsa_kernarg_size 312
		.amdhsa_user_sgpr_count 8
		.amdhsa_user_sgpr_private_segment_buffer 1
		.amdhsa_user_sgpr_dispatch_ptr 0
		.amdhsa_user_sgpr_queue_ptr 0
		.amdhsa_user_sgpr_kernarg_segment_ptr 1
		.amdhsa_user_sgpr_dispatch_id 0
		.amdhsa_user_sgpr_flat_scratch_init 1
		.amdhsa_user_sgpr_kernarg_preload_length 0
		.amdhsa_user_sgpr_kernarg_preload_offset 0
		.amdhsa_user_sgpr_private_segment_size 0
		.amdhsa_uses_dynamic_stack 0
		.amdhsa_system_sgpr_private_segment_wavefront_offset 1
		.amdhsa_system_sgpr_workgroup_id_x 1
		.amdhsa_system_sgpr_workgroup_id_y 0
		.amdhsa_system_sgpr_workgroup_id_z 0
		.amdhsa_system_sgpr_workgroup_info 0
		.amdhsa_system_vgpr_workitem_id 0
		.amdhsa_next_free_vgpr 41
		.amdhsa_next_free_sgpr 53
		.amdhsa_accum_offset 44
		.amdhsa_reserve_vcc 1
		.amdhsa_reserve_flat_scratch 1
		.amdhsa_float_round_mode_32 0
		.amdhsa_float_round_mode_16_64 0
		.amdhsa_float_denorm_mode_32 3
		.amdhsa_float_denorm_mode_16_64 3
		.amdhsa_dx10_clamp 1
		.amdhsa_ieee_mode 1
		.amdhsa_fp16_overflow 0
		.amdhsa_tg_split 0
		.amdhsa_exception_fp_ieee_invalid_op 0
		.amdhsa_exception_fp_denorm_src 0
		.amdhsa_exception_fp_ieee_div_zero 0
		.amdhsa_exception_fp_ieee_overflow 0
		.amdhsa_exception_fp_ieee_underflow 0
		.amdhsa_exception_fp_ieee_inexact 0
		.amdhsa_exception_int_div_zero 0
	.end_amdhsa_kernel
	.section	.text._ZN4vllm3moe7moeTopKILi256ElEEvPKfPKbPfPT0_Piiiii,"axG",@progbits,_ZN4vllm3moe7moeTopKILi256ElEEvPKfPKbPfPT0_Piiiii,comdat
.Lfunc_end65:
	.size	_ZN4vllm3moe7moeTopKILi256ElEEvPKfPKbPfPT0_Piiiii, .Lfunc_end65-_ZN4vllm3moe7moeTopKILi256ElEEvPKfPKbPfPT0_Piiiii
                                        ; -- End function
	.section	.AMDGPU.csdata,"",@progbits
; Kernel info:
; codeLenInByte = 1456
; NumSgprs: 59
; NumVgprs: 41
; NumAgprs: 0
; TotalNumVgprs: 41
; ScratchSize: 64
; MemoryBound: 0
; FloatMode: 240
; IeeeMode: 1
; LDSByteSize: 32 bytes/workgroup (compile time only)
; SGPRBlocks: 7
; VGPRBlocks: 5
; NumSGPRsForWavesPerEU: 59
; NumVGPRsForWavesPerEU: 41
; AccumOffset: 44
; Occupancy: 8
; WaveLimiterHint : 1
; COMPUTE_PGM_RSRC2:SCRATCH_EN: 1
; COMPUTE_PGM_RSRC2:USER_SGPR: 8
; COMPUTE_PGM_RSRC2:TRAP_HANDLER: 0
; COMPUTE_PGM_RSRC2:TGID_X_EN: 1
; COMPUTE_PGM_RSRC2:TGID_Y_EN: 0
; COMPUTE_PGM_RSRC2:TGID_Z_EN: 0
; COMPUTE_PGM_RSRC2:TIDIG_COMP_CNT: 0
; COMPUTE_PGM_RSRC3_GFX90A:ACCUM_OFFSET: 10
; COMPUTE_PGM_RSRC3_GFX90A:TG_SPLIT: 0
	.text
	.p2alignl 6, 3212836864
	.fill 256, 4, 3212836864
	.type	__const.__assert_fail.fmt,@object ; @__const.__assert_fail.fmt
	.section	.rodata.str1.16,"aMS",@progbits,1
	.p2align	4, 0x0
__const.__assert_fail.fmt:
	.asciz	"%s:%u: %s: Device-side assertion `%s' failed.\n"
	.size	__const.__assert_fail.fmt, 47

	.type	.str.1,@object                  ; @.str.1
	.section	.rodata.str1.1,"aMS",@progbits,1
.str.1:
	.asciz	"indices[idx] >= 0"
	.size	.str.1, 18

	.type	.str.2,@object                  ; @.str.2
.str.2:
	.asciz	"/root/src/amdgpu-assembly/repos/ROCm__vllm/csrc/moe/topk_softmax_kernels.hip"
	.size	.str.2, 77

	.type	__PRETTY_FUNCTION__._ZN4vllm3moe7moeTopKILi256EiEEvPKfPKbPfPT0_Piiiii,@object ; @__PRETTY_FUNCTION__._ZN4vllm3moe7moeTopKILi256EiEEvPKfPKbPfPT0_Piiiii
__PRETTY_FUNCTION__._ZN4vllm3moe7moeTopKILi256EiEEvPKfPKbPfPT0_Piiiii:
	.asciz	"void vllm::moe::moeTopK(const float *, const bool *, float *, IndType *, int *, const int, const int, const int, const int) [TPB = 256, IndType = int]"
	.size	__PRETTY_FUNCTION__._ZN4vllm3moe7moeTopKILi256EiEEvPKfPKbPfPT0_Piiiii, 151

	.type	__PRETTY_FUNCTION__._ZN4vllm3moe7moeTopKILi256ElEEvPKfPKbPfPT0_Piiiii,@object ; @__PRETTY_FUNCTION__._ZN4vllm3moe7moeTopKILi256ElEEvPKfPKbPfPT0_Piiiii
__PRETTY_FUNCTION__._ZN4vllm3moe7moeTopKILi256ElEEvPKfPKbPfPT0_Piiiii:
	.asciz	"void vllm::moe::moeTopK(const float *, const bool *, float *, IndType *, int *, const int, const int, const int, const int) [TPB = 256, IndType = long]"
	.size	__PRETTY_FUNCTION__._ZN4vllm3moe7moeTopKILi256ElEEvPKfPKbPfPT0_Piiiii, 152

	.type	__hip_cuid_9fc3de8c187877ee,@object ; @__hip_cuid_9fc3de8c187877ee
	.section	.bss,"aw",@nobits
	.globl	__hip_cuid_9fc3de8c187877ee
__hip_cuid_9fc3de8c187877ee:
	.byte	0                               ; 0x0
	.size	__hip_cuid_9fc3de8c187877ee, 1

	.ident	"AMD clang version 19.0.0git (https://github.com/RadeonOpenCompute/llvm-project roc-6.4.0 25133 c7fe45cf4b819c5991fe208aaa96edf142730f1d)"
	.section	".note.GNU-stack","",@progbits
	.addrsig
	.addrsig_sym __hip_cuid_9fc3de8c187877ee
	.amdgpu_metadata
---
amdhsa.kernels:
  - .agpr_count:     0
    .args:
      - .address_space:  global
        .offset:         0
        .size:           8
        .value_kind:     global_buffer
      - .address_space:  global
        .offset:         8
        .size:           8
        .value_kind:     global_buffer
      - .address_space:  global
        .offset:         16
        .size:           8
        .value_kind:     global_buffer
      - .offset:         24
        .size:           4
        .value_kind:     by_value
      - .address_space:  global
        .offset:         32
        .size:           8
        .value_kind:     global_buffer
      - .address_space:  global
        .offset:         40
        .size:           8
        .value_kind:     global_buffer
      - .offset:         48
        .size:           4
        .value_kind:     by_value
      - .offset:         52
        .size:           4
        .value_kind:     by_value
      - .offset:         56
        .size:           4
        .value_kind:     by_value
    .group_segment_fixed_size: 0
    .kernarg_segment_align: 8
    .kernarg_segment_size: 60
    .language:       OpenCL C
    .language_version:
      - 2
      - 0
    .max_flat_workgroup_size: 256
    .name:           _ZN4vllm3moe17topkGatingSoftmaxILi1ELi1ELi4ELi4ELi64EiEEvPKfPKbPfiPT4_Piiii
    .private_segment_fixed_size: 0
    .sgpr_count:     24
    .sgpr_spill_count: 0
    .symbol:         _ZN4vllm3moe17topkGatingSoftmaxILi1ELi1ELi4ELi4ELi64EiEEvPKfPKbPfiPT4_Piiii.kd
    .uniform_work_group_size: 1
    .uses_dynamic_stack: false
    .vgpr_count:     14
    .vgpr_spill_count: 0
    .wavefront_size: 64
  - .agpr_count:     0
    .args:
      - .address_space:  global
        .offset:         0
        .size:           8
        .value_kind:     global_buffer
      - .address_space:  global
        .offset:         8
        .size:           8
        .value_kind:     global_buffer
      - .address_space:  global
        .offset:         16
        .size:           8
        .value_kind:     global_buffer
      - .offset:         24
        .size:           4
        .value_kind:     by_value
      - .address_space:  global
        .offset:         32
        .size:           8
        .value_kind:     global_buffer
      - .address_space:  global
        .offset:         40
        .size:           8
        .value_kind:     global_buffer
      - .offset:         48
        .size:           4
        .value_kind:     by_value
      - .offset:         52
        .size:           4
        .value_kind:     by_value
      - .offset:         56
        .size:           4
        .value_kind:     by_value
    .group_segment_fixed_size: 0
    .kernarg_segment_align: 8
    .kernarg_segment_size: 60
    .language:       OpenCL C
    .language_version:
      - 2
      - 0
    .max_flat_workgroup_size: 128
    .name:           _ZN4vllm3moe17topkGatingSoftmaxILi1ELi1ELi4ELi4ELi32EiEEvPKfPKbPfiPT4_Piiii
    .private_segment_fixed_size: 0
    .sgpr_count:     24
    .sgpr_spill_count: 0
    .symbol:         _ZN4vllm3moe17topkGatingSoftmaxILi1ELi1ELi4ELi4ELi32EiEEvPKfPKbPfiPT4_Piiii.kd
    .uniform_work_group_size: 1
    .uses_dynamic_stack: false
    .vgpr_count:     14
    .vgpr_spill_count: 0
    .wavefront_size: 64
  - .agpr_count:     0
    .args:
      - .address_space:  global
        .offset:         0
        .size:           8
        .value_kind:     global_buffer
      - .address_space:  global
        .offset:         8
        .size:           8
        .value_kind:     global_buffer
      - .address_space:  global
        .offset:         16
        .size:           8
        .value_kind:     global_buffer
      - .offset:         24
        .size:           4
        .value_kind:     by_value
      - .address_space:  global
        .offset:         32
        .size:           8
        .value_kind:     global_buffer
      - .address_space:  global
        .offset:         40
        .size:           8
        .value_kind:     global_buffer
      - .offset:         48
        .size:           4
        .value_kind:     by_value
      - .offset:         52
        .size:           4
        .value_kind:     by_value
      - .offset:         56
        .size:           4
        .value_kind:     by_value
    .group_segment_fixed_size: 0
    .kernarg_segment_align: 8
    .kernarg_segment_size: 60
    .language:       OpenCL C
    .language_version:
      - 2
      - 0
    .max_flat_workgroup_size: 256
    .name:           _ZN4vllm3moe17topkGatingSoftmaxILi2ELi2ELi4ELi8ELi64EiEEvPKfPKbPfiPT4_Piiii
    .private_segment_fixed_size: 0
    .sgpr_count:     20
    .sgpr_spill_count: 0
    .symbol:         _ZN4vllm3moe17topkGatingSoftmaxILi2ELi2ELi4ELi8ELi64EiEEvPKfPKbPfiPT4_Piiii.kd
    .uniform_work_group_size: 1
    .uses_dynamic_stack: false
    .vgpr_count:     16
    .vgpr_spill_count: 0
    .wavefront_size: 64
  - .agpr_count:     0
    .args:
      - .address_space:  global
        .offset:         0
        .size:           8
        .value_kind:     global_buffer
      - .address_space:  global
        .offset:         8
        .size:           8
        .value_kind:     global_buffer
      - .address_space:  global
        .offset:         16
        .size:           8
        .value_kind:     global_buffer
      - .offset:         24
        .size:           4
        .value_kind:     by_value
      - .address_space:  global
        .offset:         32
        .size:           8
        .value_kind:     global_buffer
      - .address_space:  global
        .offset:         40
        .size:           8
        .value_kind:     global_buffer
      - .offset:         48
        .size:           4
        .value_kind:     by_value
      - .offset:         52
        .size:           4
        .value_kind:     by_value
      - .offset:         56
        .size:           4
        .value_kind:     by_value
    .group_segment_fixed_size: 0
    .kernarg_segment_align: 8
    .kernarg_segment_size: 60
    .language:       OpenCL C
    .language_version:
      - 2
      - 0
    .max_flat_workgroup_size: 128
    .name:           _ZN4vllm3moe17topkGatingSoftmaxILi2ELi2ELi4ELi8ELi32EiEEvPKfPKbPfiPT4_Piiii
    .private_segment_fixed_size: 0
    .sgpr_count:     20
    .sgpr_spill_count: 0
    .symbol:         _ZN4vllm3moe17topkGatingSoftmaxILi2ELi2ELi4ELi8ELi32EiEEvPKfPKbPfiPT4_Piiii.kd
    .uniform_work_group_size: 1
    .uses_dynamic_stack: false
    .vgpr_count:     16
    .vgpr_spill_count: 0
    .wavefront_size: 64
  - .agpr_count:     0
    .args:
      - .address_space:  global
        .offset:         0
        .size:           8
        .value_kind:     global_buffer
      - .address_space:  global
        .offset:         8
        .size:           8
        .value_kind:     global_buffer
      - .address_space:  global
        .offset:         16
        .size:           8
        .value_kind:     global_buffer
      - .offset:         24
        .size:           4
        .value_kind:     by_value
      - .address_space:  global
        .offset:         32
        .size:           8
        .value_kind:     global_buffer
      - .address_space:  global
        .offset:         40
        .size:           8
        .value_kind:     global_buffer
      - .offset:         48
        .size:           4
        .value_kind:     by_value
      - .offset:         52
        .size:           4
        .value_kind:     by_value
      - .offset:         56
        .size:           4
        .value_kind:     by_value
    .group_segment_fixed_size: 4096
    .kernarg_segment_align: 8
    .kernarg_segment_size: 60
    .language:       OpenCL C
    .language_version:
      - 2
      - 0
    .max_flat_workgroup_size: 256
    .name:           _ZN4vllm3moe17topkGatingSoftmaxILi4ELi4ELi4ELi16ELi64EiEEvPKfPKbPfiPT4_Piiii
    .private_segment_fixed_size: 0
    .sgpr_count:     24
    .sgpr_spill_count: 0
    .symbol:         _ZN4vllm3moe17topkGatingSoftmaxILi4ELi4ELi4ELi16ELi64EiEEvPKfPKbPfiPT4_Piiii.kd
    .uniform_work_group_size: 1
    .uses_dynamic_stack: false
    .vgpr_count:     20
    .vgpr_spill_count: 0
    .wavefront_size: 64
  - .agpr_count:     0
    .args:
      - .address_space:  global
        .offset:         0
        .size:           8
        .value_kind:     global_buffer
      - .address_space:  global
        .offset:         8
        .size:           8
        .value_kind:     global_buffer
      - .address_space:  global
        .offset:         16
        .size:           8
        .value_kind:     global_buffer
      - .offset:         24
        .size:           4
        .value_kind:     by_value
      - .address_space:  global
        .offset:         32
        .size:           8
        .value_kind:     global_buffer
      - .address_space:  global
        .offset:         40
        .size:           8
        .value_kind:     global_buffer
      - .offset:         48
        .size:           4
        .value_kind:     by_value
      - .offset:         52
        .size:           4
        .value_kind:     by_value
      - .offset:         56
        .size:           4
        .value_kind:     by_value
    .group_segment_fixed_size: 2048
    .kernarg_segment_align: 8
    .kernarg_segment_size: 60
    .language:       OpenCL C
    .language_version:
      - 2
      - 0
    .max_flat_workgroup_size: 128
    .name:           _ZN4vllm3moe17topkGatingSoftmaxILi4ELi4ELi4ELi16ELi32EiEEvPKfPKbPfiPT4_Piiii
    .private_segment_fixed_size: 0
    .sgpr_count:     24
    .sgpr_spill_count: 0
    .symbol:         _ZN4vllm3moe17topkGatingSoftmaxILi4ELi4ELi4ELi16ELi32EiEEvPKfPKbPfiPT4_Piiii.kd
    .uniform_work_group_size: 1
    .uses_dynamic_stack: false
    .vgpr_count:     20
    .vgpr_spill_count: 0
    .wavefront_size: 64
  - .agpr_count:     0
    .args:
      - .address_space:  global
        .offset:         0
        .size:           8
        .value_kind:     global_buffer
      - .address_space:  global
        .offset:         8
        .size:           8
        .value_kind:     global_buffer
      - .address_space:  global
        .offset:         16
        .size:           8
        .value_kind:     global_buffer
      - .offset:         24
        .size:           4
        .value_kind:     by_value
      - .address_space:  global
        .offset:         32
        .size:           8
        .value_kind:     global_buffer
      - .address_space:  global
        .offset:         40
        .size:           8
        .value_kind:     global_buffer
      - .offset:         48
        .size:           4
        .value_kind:     by_value
      - .offset:         52
        .size:           4
        .value_kind:     by_value
      - .offset:         56
        .size:           4
        .value_kind:     by_value
    .group_segment_fixed_size: 4096
    .kernarg_segment_align: 8
    .kernarg_segment_size: 60
    .language:       OpenCL C
    .language_version:
      - 2
      - 0
    .max_flat_workgroup_size: 256
    .name:           _ZN4vllm3moe17topkGatingSoftmaxILi4ELi8ELi4ELi16ELi64EiEEvPKfPKbPfiPT4_Piiii
    .private_segment_fixed_size: 0
    .sgpr_count:     25
    .sgpr_spill_count: 0
    .symbol:         _ZN4vllm3moe17topkGatingSoftmaxILi4ELi8ELi4ELi16ELi64EiEEvPKfPKbPfiPT4_Piiii.kd
    .uniform_work_group_size: 1
    .uses_dynamic_stack: false
    .vgpr_count:     23
    .vgpr_spill_count: 0
    .wavefront_size: 64
  - .agpr_count:     0
    .args:
      - .address_space:  global
        .offset:         0
        .size:           8
        .value_kind:     global_buffer
      - .address_space:  global
        .offset:         8
        .size:           8
        .value_kind:     global_buffer
      - .address_space:  global
        .offset:         16
        .size:           8
        .value_kind:     global_buffer
      - .offset:         24
        .size:           4
        .value_kind:     by_value
      - .address_space:  global
        .offset:         32
        .size:           8
        .value_kind:     global_buffer
      - .address_space:  global
        .offset:         40
        .size:           8
        .value_kind:     global_buffer
      - .offset:         48
        .size:           4
        .value_kind:     by_value
      - .offset:         52
        .size:           4
        .value_kind:     by_value
      - .offset:         56
        .size:           4
        .value_kind:     by_value
    .group_segment_fixed_size: 2048
    .kernarg_segment_align: 8
    .kernarg_segment_size: 60
    .language:       OpenCL C
    .language_version:
      - 2
      - 0
    .max_flat_workgroup_size: 128
    .name:           _ZN4vllm3moe17topkGatingSoftmaxILi4ELi8ELi4ELi16ELi32EiEEvPKfPKbPfiPT4_Piiii
    .private_segment_fixed_size: 0
    .sgpr_count:     25
    .sgpr_spill_count: 0
    .symbol:         _ZN4vllm3moe17topkGatingSoftmaxILi4ELi8ELi4ELi16ELi32EiEEvPKfPKbPfiPT4_Piiii.kd
    .uniform_work_group_size: 1
    .uses_dynamic_stack: false
    .vgpr_count:     23
    .vgpr_spill_count: 0
    .wavefront_size: 64
  - .agpr_count:     0
    .args:
      - .address_space:  global
        .offset:         0
        .size:           8
        .value_kind:     global_buffer
      - .address_space:  global
        .offset:         8
        .size:           8
        .value_kind:     global_buffer
      - .address_space:  global
        .offset:         16
        .size:           8
        .value_kind:     global_buffer
      - .offset:         24
        .size:           4
        .value_kind:     by_value
      - .address_space:  global
        .offset:         32
        .size:           8
        .value_kind:     global_buffer
      - .address_space:  global
        .offset:         40
        .size:           8
        .value_kind:     global_buffer
      - .offset:         48
        .size:           4
        .value_kind:     by_value
      - .offset:         52
        .size:           4
        .value_kind:     by_value
      - .offset:         56
        .size:           4
        .value_kind:     by_value
    .group_segment_fixed_size: 4096
    .kernarg_segment_align: 8
    .kernarg_segment_size: 60
    .language:       OpenCL C
    .language_version:
      - 2
      - 0
    .max_flat_workgroup_size: 256
    .name:           _ZN4vllm3moe17topkGatingSoftmaxILi4ELi16ELi4ELi16ELi64EiEEvPKfPKbPfiPT4_Piiii
    .private_segment_fixed_size: 0
    .sgpr_count:     25
    .sgpr_spill_count: 0
    .symbol:         _ZN4vllm3moe17topkGatingSoftmaxILi4ELi16ELi4ELi16ELi64EiEEvPKfPKbPfiPT4_Piiii.kd
    .uniform_work_group_size: 1
    .uses_dynamic_stack: false
    .vgpr_count:     24
    .vgpr_spill_count: 0
    .wavefront_size: 64
  - .agpr_count:     0
    .args:
      - .address_space:  global
        .offset:         0
        .size:           8
        .value_kind:     global_buffer
      - .address_space:  global
        .offset:         8
        .size:           8
        .value_kind:     global_buffer
      - .address_space:  global
        .offset:         16
        .size:           8
        .value_kind:     global_buffer
      - .offset:         24
        .size:           4
        .value_kind:     by_value
      - .address_space:  global
        .offset:         32
        .size:           8
        .value_kind:     global_buffer
      - .address_space:  global
        .offset:         40
        .size:           8
        .value_kind:     global_buffer
      - .offset:         48
        .size:           4
        .value_kind:     by_value
      - .offset:         52
        .size:           4
        .value_kind:     by_value
      - .offset:         56
        .size:           4
        .value_kind:     by_value
    .group_segment_fixed_size: 2048
    .kernarg_segment_align: 8
    .kernarg_segment_size: 60
    .language:       OpenCL C
    .language_version:
      - 2
      - 0
    .max_flat_workgroup_size: 128
    .name:           _ZN4vllm3moe17topkGatingSoftmaxILi4ELi16ELi4ELi16ELi32EiEEvPKfPKbPfiPT4_Piiii
    .private_segment_fixed_size: 0
    .sgpr_count:     25
    .sgpr_spill_count: 0
    .symbol:         _ZN4vllm3moe17topkGatingSoftmaxILi4ELi16ELi4ELi16ELi32EiEEvPKfPKbPfiPT4_Piiii.kd
    .uniform_work_group_size: 1
    .uses_dynamic_stack: false
    .vgpr_count:     24
    .vgpr_spill_count: 0
    .wavefront_size: 64
  - .agpr_count:     0
    .args:
      - .address_space:  global
        .offset:         0
        .size:           8
        .value_kind:     global_buffer
      - .address_space:  global
        .offset:         8
        .size:           8
        .value_kind:     global_buffer
      - .address_space:  global
        .offset:         16
        .size:           8
        .value_kind:     global_buffer
      - .offset:         24
        .size:           4
        .value_kind:     by_value
      - .address_space:  global
        .offset:         32
        .size:           8
        .value_kind:     global_buffer
      - .address_space:  global
        .offset:         40
        .size:           8
        .value_kind:     global_buffer
      - .offset:         48
        .size:           4
        .value_kind:     by_value
      - .offset:         52
        .size:           4
        .value_kind:     by_value
      - .offset:         56
        .size:           4
        .value_kind:     by_value
    .group_segment_fixed_size: 4096
    .kernarg_segment_align: 8
    .kernarg_segment_size: 60
    .language:       OpenCL C
    .language_version:
      - 2
      - 0
    .max_flat_workgroup_size: 256
    .name:           _ZN4vllm3moe17topkGatingSoftmaxILi4ELi32ELi4ELi16ELi64EiEEvPKfPKbPfiPT4_Piiii
    .private_segment_fixed_size: 0
    .sgpr_count:     25
    .sgpr_spill_count: 0
    .symbol:         _ZN4vllm3moe17topkGatingSoftmaxILi4ELi32ELi4ELi16ELi64EiEEvPKfPKbPfiPT4_Piiii.kd
    .uniform_work_group_size: 1
    .uses_dynamic_stack: false
    .vgpr_count:     25
    .vgpr_spill_count: 0
    .wavefront_size: 64
  - .agpr_count:     0
    .args:
      - .address_space:  global
        .offset:         0
        .size:           8
        .value_kind:     global_buffer
      - .address_space:  global
        .offset:         8
        .size:           8
        .value_kind:     global_buffer
      - .address_space:  global
        .offset:         16
        .size:           8
        .value_kind:     global_buffer
      - .offset:         24
        .size:           4
        .value_kind:     by_value
      - .address_space:  global
        .offset:         32
        .size:           8
        .value_kind:     global_buffer
      - .address_space:  global
        .offset:         40
        .size:           8
        .value_kind:     global_buffer
      - .offset:         48
        .size:           4
        .value_kind:     by_value
      - .offset:         52
        .size:           4
        .value_kind:     by_value
      - .offset:         56
        .size:           4
        .value_kind:     by_value
    .group_segment_fixed_size: 2048
    .kernarg_segment_align: 8
    .kernarg_segment_size: 60
    .language:       OpenCL C
    .language_version:
      - 2
      - 0
    .max_flat_workgroup_size: 128
    .name:           _ZN4vllm3moe17topkGatingSoftmaxILi4ELi32ELi4ELi16ELi32EiEEvPKfPKbPfiPT4_Piiii
    .private_segment_fixed_size: 0
    .sgpr_count:     25
    .sgpr_spill_count: 0
    .symbol:         _ZN4vllm3moe17topkGatingSoftmaxILi4ELi32ELi4ELi16ELi32EiEEvPKfPKbPfiPT4_Piiii.kd
    .uniform_work_group_size: 1
    .uses_dynamic_stack: false
    .vgpr_count:     25
    .vgpr_spill_count: 0
    .wavefront_size: 64
  - .agpr_count:     0
    .args:
      - .address_space:  global
        .offset:         0
        .size:           8
        .value_kind:     global_buffer
      - .address_space:  global
        .offset:         8
        .size:           8
        .value_kind:     global_buffer
      - .address_space:  global
        .offset:         16
        .size:           8
        .value_kind:     global_buffer
      - .offset:         24
        .size:           4
        .value_kind:     by_value
      - .address_space:  global
        .offset:         32
        .size:           8
        .value_kind:     global_buffer
      - .address_space:  global
        .offset:         40
        .size:           8
        .value_kind:     global_buffer
      - .offset:         48
        .size:           4
        .value_kind:     by_value
      - .offset:         52
        .size:           4
        .value_kind:     by_value
      - .offset:         56
        .size:           4
        .value_kind:     by_value
    .group_segment_fixed_size: 4096
    .kernarg_segment_align: 8
    .kernarg_segment_size: 60
    .language:       OpenCL C
    .language_version:
      - 2
      - 0
    .max_flat_workgroup_size: 256
    .name:           _ZN4vllm3moe17topkGatingSoftmaxILi4ELi64ELi4ELi16ELi64EiEEvPKfPKbPfiPT4_Piiii
    .private_segment_fixed_size: 0
    .sgpr_count:     25
    .sgpr_spill_count: 0
    .symbol:         _ZN4vllm3moe17topkGatingSoftmaxILi4ELi64ELi4ELi16ELi64EiEEvPKfPKbPfiPT4_Piiii.kd
    .uniform_work_group_size: 1
    .uses_dynamic_stack: false
    .vgpr_count:     26
    .vgpr_spill_count: 0
    .wavefront_size: 64
  - .agpr_count:     0
    .args:
      - .address_space:  global
        .offset:         0
        .size:           8
        .value_kind:     global_buffer
      - .address_space:  global
        .offset:         8
        .size:           8
        .value_kind:     global_buffer
      - .address_space:  global
        .offset:         16
        .size:           8
        .value_kind:     global_buffer
      - .offset:         24
        .size:           4
        .value_kind:     by_value
      - .address_space:  global
        .offset:         32
        .size:           8
        .value_kind:     global_buffer
      - .address_space:  global
        .offset:         40
        .size:           8
        .value_kind:     global_buffer
      - .offset:         48
        .size:           4
        .value_kind:     by_value
      - .offset:         52
        .size:           4
        .value_kind:     by_value
      - .offset:         56
        .size:           4
        .value_kind:     by_value
    .group_segment_fixed_size: 2048
    .kernarg_segment_align: 8
    .kernarg_segment_size: 60
    .language:       OpenCL C
    .language_version:
      - 2
      - 0
    .max_flat_workgroup_size: 128
    .name:           _ZN4vllm3moe17topkGatingSoftmaxILi4ELi64ELi4ELi16ELi32EiEEvPKfPKbPfiPT4_Piiii
    .private_segment_fixed_size: 0
    .sgpr_count:     25
    .sgpr_spill_count: 0
    .symbol:         _ZN4vllm3moe17topkGatingSoftmaxILi4ELi64ELi4ELi16ELi32EiEEvPKfPKbPfiPT4_Piiii.kd
    .uniform_work_group_size: 1
    .uses_dynamic_stack: false
    .vgpr_count:     26
    .vgpr_spill_count: 0
    .wavefront_size: 64
  - .agpr_count:     0
    .args:
      - .address_space:  global
        .offset:         0
        .size:           8
        .value_kind:     global_buffer
      - .address_space:  global
        .offset:         8
        .size:           8
        .value_kind:     global_buffer
      - .address_space:  global
        .offset:         16
        .size:           8
        .value_kind:     global_buffer
      - .offset:         24
        .size:           4
        .value_kind:     by_value
      - .address_space:  global
        .offset:         32
        .size:           8
        .value_kind:     global_buffer
      - .address_space:  global
        .offset:         40
        .size:           8
        .value_kind:     global_buffer
      - .offset:         48
        .size:           4
        .value_kind:     by_value
      - .offset:         52
        .size:           4
        .value_kind:     by_value
      - .offset:         56
        .size:           4
        .value_kind:     by_value
    .group_segment_fixed_size: 4096
    .kernarg_segment_align: 8
    .kernarg_segment_size: 60
    .language:       OpenCL C
    .language_version:
      - 2
      - 0
    .max_flat_workgroup_size: 256
    .name:           _ZN4vllm3moe17topkGatingSoftmaxILi4ELi128ELi4ELi16ELi64EiEEvPKfPKbPfiPT4_Piiii
    .private_segment_fixed_size: 0
    .sgpr_count:     25
    .sgpr_spill_count: 0
    .symbol:         _ZN4vllm3moe17topkGatingSoftmaxILi4ELi128ELi4ELi16ELi64EiEEvPKfPKbPfiPT4_Piiii.kd
    .uniform_work_group_size: 1
    .uses_dynamic_stack: false
    .vgpr_count:     27
    .vgpr_spill_count: 0
    .wavefront_size: 64
  - .agpr_count:     0
    .args:
      - .address_space:  global
        .offset:         0
        .size:           8
        .value_kind:     global_buffer
      - .address_space:  global
        .offset:         8
        .size:           8
        .value_kind:     global_buffer
      - .address_space:  global
        .offset:         16
        .size:           8
        .value_kind:     global_buffer
      - .offset:         24
        .size:           4
        .value_kind:     by_value
      - .address_space:  global
        .offset:         32
        .size:           8
        .value_kind:     global_buffer
      - .address_space:  global
        .offset:         40
        .size:           8
        .value_kind:     global_buffer
      - .offset:         48
        .size:           4
        .value_kind:     by_value
      - .offset:         52
        .size:           4
        .value_kind:     by_value
      - .offset:         56
        .size:           4
        .value_kind:     by_value
    .group_segment_fixed_size: 2048
    .kernarg_segment_align: 8
    .kernarg_segment_size: 60
    .language:       OpenCL C
    .language_version:
      - 2
      - 0
    .max_flat_workgroup_size: 128
    .name:           _ZN4vllm3moe17topkGatingSoftmaxILi4ELi128ELi4ELi16ELi32EiEEvPKfPKbPfiPT4_Piiii
    .private_segment_fixed_size: 0
    .sgpr_count:     25
    .sgpr_spill_count: 0
    .symbol:         _ZN4vllm3moe17topkGatingSoftmaxILi4ELi128ELi4ELi16ELi32EiEEvPKfPKbPfiPT4_Piiii.kd
    .uniform_work_group_size: 1
    .uses_dynamic_stack: false
    .vgpr_count:     27
    .vgpr_spill_count: 0
    .wavefront_size: 64
  - .agpr_count:     0
    .args:
      - .address_space:  global
        .offset:         0
        .size:           8
        .value_kind:     global_buffer
      - .address_space:  global
        .offset:         8
        .size:           8
        .value_kind:     global_buffer
      - .address_space:  global
        .offset:         16
        .size:           8
        .value_kind:     global_buffer
      - .offset:         24
        .size:           4
        .value_kind:     by_value
      - .address_space:  global
        .offset:         32
        .size:           8
        .value_kind:     global_buffer
      - .address_space:  global
        .offset:         40
        .size:           8
        .value_kind:     global_buffer
      - .offset:         48
        .size:           4
        .value_kind:     by_value
      - .offset:         52
        .size:           4
        .value_kind:     by_value
      - .offset:         56
        .size:           4
        .value_kind:     by_value
    .group_segment_fixed_size: 4096
    .kernarg_segment_align: 8
    .kernarg_segment_size: 60
    .language:       OpenCL C
    .language_version:
      - 2
      - 0
    .max_flat_workgroup_size: 256
    .name:           _ZN4vllm3moe17topkGatingSoftmaxILi4ELi256ELi4ELi16ELi64EiEEvPKfPKbPfiPT4_Piiii
    .private_segment_fixed_size: 0
    .sgpr_count:     25
    .sgpr_spill_count: 0
    .symbol:         _ZN4vllm3moe17topkGatingSoftmaxILi4ELi256ELi4ELi16ELi64EiEEvPKfPKbPfiPT4_Piiii.kd
    .uniform_work_group_size: 1
    .uses_dynamic_stack: false
    .vgpr_count:     28
    .vgpr_spill_count: 0
    .wavefront_size: 64
  - .agpr_count:     0
    .args:
      - .address_space:  global
        .offset:         0
        .size:           8
        .value_kind:     global_buffer
      - .address_space:  global
        .offset:         8
        .size:           8
        .value_kind:     global_buffer
      - .address_space:  global
        .offset:         16
        .size:           8
        .value_kind:     global_buffer
      - .offset:         24
        .size:           4
        .value_kind:     by_value
      - .address_space:  global
        .offset:         32
        .size:           8
        .value_kind:     global_buffer
      - .address_space:  global
        .offset:         40
        .size:           8
        .value_kind:     global_buffer
      - .offset:         48
        .size:           4
        .value_kind:     by_value
      - .offset:         52
        .size:           4
        .value_kind:     by_value
      - .offset:         56
        .size:           4
        .value_kind:     by_value
    .group_segment_fixed_size: 4096
    .kernarg_segment_align: 8
    .kernarg_segment_size: 60
    .language:       OpenCL C
    .language_version:
      - 2
      - 0
    .max_flat_workgroup_size: 128
    .name:           _ZN4vllm3moe17topkGatingSoftmaxILi8ELi256ELi4ELi16ELi32EiEEvPKfPKbPfiPT4_Piiii
    .private_segment_fixed_size: 0
    .sgpr_count:     25
    .sgpr_spill_count: 0
    .symbol:         _ZN4vllm3moe17topkGatingSoftmaxILi8ELi256ELi4ELi16ELi32EiEEvPKfPKbPfiPT4_Piiii.kd
    .uniform_work_group_size: 1
    .uses_dynamic_stack: false
    .vgpr_count:     38
    .vgpr_spill_count: 0
    .wavefront_size: 64
  - .agpr_count:     0
    .args:
      - .address_space:  global
        .offset:         0
        .size:           8
        .value_kind:     global_buffer
      - .address_space:  global
        .offset:         8
        .size:           8
        .value_kind:     global_buffer
      - .address_space:  global
        .offset:         16
        .size:           8
        .value_kind:     global_buffer
      - .offset:         24
        .size:           4
        .value_kind:     by_value
      - .address_space:  global
        .offset:         32
        .size:           8
        .value_kind:     global_buffer
      - .address_space:  global
        .offset:         40
        .size:           8
        .value_kind:     global_buffer
      - .offset:         48
        .size:           4
        .value_kind:     by_value
      - .offset:         52
        .size:           4
        .value_kind:     by_value
      - .offset:         56
        .size:           4
        .value_kind:     by_value
    .group_segment_fixed_size: 8192
    .kernarg_segment_align: 8
    .kernarg_segment_size: 60
    .language:       OpenCL C
    .language_version:
      - 2
      - 0
    .max_flat_workgroup_size: 256
    .name:           _ZN4vllm3moe17topkGatingSoftmaxILi8ELi512ELi4ELi16ELi64EiEEvPKfPKbPfiPT4_Piiii
    .private_segment_fixed_size: 0
    .sgpr_count:     25
    .sgpr_spill_count: 0
    .symbol:         _ZN4vllm3moe17topkGatingSoftmaxILi8ELi512ELi4ELi16ELi64EiEEvPKfPKbPfiPT4_Piiii.kd
    .uniform_work_group_size: 1
    .uses_dynamic_stack: false
    .vgpr_count:     39
    .vgpr_spill_count: 0
    .wavefront_size: 64
  - .agpr_count:     0
    .args:
      - .address_space:  global
        .offset:         0
        .size:           8
        .value_kind:     global_buffer
      - .address_space:  global
        .offset:         8
        .size:           8
        .value_kind:     global_buffer
      - .address_space:  global
        .offset:         16
        .size:           8
        .value_kind:     global_buffer
      - .offset:         24
        .size:           4
        .value_kind:     by_value
      - .address_space:  global
        .offset:         32
        .size:           8
        .value_kind:     global_buffer
      - .address_space:  global
        .offset:         40
        .size:           8
        .value_kind:     global_buffer
      - .offset:         48
        .size:           4
        .value_kind:     by_value
      - .offset:         52
        .size:           4
        .value_kind:     by_value
      - .offset:         56
        .size:           4
        .value_kind:     by_value
    .group_segment_fixed_size: 0
    .kernarg_segment_align: 8
    .kernarg_segment_size: 60
    .language:       OpenCL C
    .language_version:
      - 2
      - 0
    .max_flat_workgroup_size: 128
    .name:           _ZN4vllm3moe17topkGatingSoftmaxILi16ELi512ELi4ELi16ELi32EiEEvPKfPKbPfiPT4_Piiii
    .private_segment_fixed_size: 80
    .sgpr_count:     29
    .sgpr_spill_count: 0
    .symbol:         _ZN4vllm3moe17topkGatingSoftmaxILi16ELi512ELi4ELi16ELi32EiEEvPKfPKbPfiPT4_Piiii.kd
    .uniform_work_group_size: 1
    .uses_dynamic_stack: false
    .vgpr_count:     49
    .vgpr_spill_count: 0
    .wavefront_size: 64
  - .agpr_count:     0
    .args:
      - .address_space:  global
        .offset:         0
        .size:           8
        .value_kind:     global_buffer
      - .address_space:  global
        .offset:         8
        .size:           8
        .value_kind:     global_buffer
      - .address_space:  global
        .offset:         16
        .size:           8
        .value_kind:     global_buffer
      - .offset:         24
        .size:           4
        .value_kind:     by_value
    .group_segment_fixed_size: 24
    .kernarg_segment_align: 8
    .kernarg_segment_size: 28
    .language:       OpenCL C
    .language_version:
      - 2
      - 0
    .max_flat_workgroup_size: 256
    .name:           _ZN4vllm3moe10moeSoftmaxILi256EEEvPKfPKbPfi
    .private_segment_fixed_size: 0
    .sgpr_count:     24
    .sgpr_spill_count: 0
    .symbol:         _ZN4vllm3moe10moeSoftmaxILi256EEEvPKfPKbPfi.kd
    .uniform_work_group_size: 1
    .uses_dynamic_stack: false
    .vgpr_count:     17
    .vgpr_spill_count: 0
    .wavefront_size: 64
  - .agpr_count:     0
    .args:
      - .address_space:  global
        .offset:         0
        .size:           8
        .value_kind:     global_buffer
      - .address_space:  global
        .offset:         8
        .size:           8
        .value_kind:     global_buffer
      - .address_space:  global
        .offset:         16
        .size:           8
        .value_kind:     global_buffer
      - .address_space:  global
        .offset:         24
        .size:           8
        .value_kind:     global_buffer
      - .address_space:  global
        .offset:         32
        .size:           8
        .value_kind:     global_buffer
      - .offset:         40
        .size:           4
        .value_kind:     by_value
      - .offset:         44
        .size:           4
        .value_kind:     by_value
      - .offset:         48
        .size:           4
        .value_kind:     by_value
      - .offset:         52
        .size:           4
        .value_kind:     by_value
      - .offset:         56
        .size:           4
        .value_kind:     hidden_block_count_x
      - .offset:         60
        .size:           4
        .value_kind:     hidden_block_count_y
      - .offset:         64
        .size:           4
        .value_kind:     hidden_block_count_z
      - .offset:         68
        .size:           2
        .value_kind:     hidden_group_size_x
      - .offset:         70
        .size:           2
        .value_kind:     hidden_group_size_y
      - .offset:         72
        .size:           2
        .value_kind:     hidden_group_size_z
      - .offset:         74
        .size:           2
        .value_kind:     hidden_remainder_x
      - .offset:         76
        .size:           2
        .value_kind:     hidden_remainder_y
      - .offset:         78
        .size:           2
        .value_kind:     hidden_remainder_z
      - .offset:         96
        .size:           8
        .value_kind:     hidden_global_offset_x
      - .offset:         104
        .size:           8
        .value_kind:     hidden_global_offset_y
      - .offset:         112
        .size:           8
        .value_kind:     hidden_global_offset_z
      - .offset:         120
        .size:           2
        .value_kind:     hidden_grid_dims
      - .offset:         136
        .size:           8
        .value_kind:     hidden_hostcall_buffer
    .group_segment_fixed_size: 32
    .kernarg_segment_align: 8
    .kernarg_segment_size: 312
    .language:       OpenCL C
    .language_version:
      - 2
      - 0
    .max_flat_workgroup_size: 256
    .name:           _ZN4vllm3moe7moeTopKILi256EiEEvPKfPKbPfPT0_Piiiii
    .private_segment_fixed_size: 64
    .sgpr_count:     59
    .sgpr_spill_count: 0
    .symbol:         _ZN4vllm3moe7moeTopKILi256EiEEvPKfPKbPfPT0_Piiiii.kd
    .uniform_work_group_size: 1
    .uses_dynamic_stack: false
    .vgpr_count:     41
    .vgpr_spill_count: 0
    .wavefront_size: 64
  - .agpr_count:     0
    .args:
      - .address_space:  global
        .offset:         0
        .size:           8
        .value_kind:     global_buffer
      - .address_space:  global
        .offset:         8
        .size:           8
        .value_kind:     global_buffer
      - .address_space:  global
        .offset:         16
        .size:           8
        .value_kind:     global_buffer
      - .offset:         24
        .size:           4
        .value_kind:     by_value
      - .address_space:  global
        .offset:         32
        .size:           8
        .value_kind:     global_buffer
      - .address_space:  global
        .offset:         40
        .size:           8
        .value_kind:     global_buffer
      - .offset:         48
        .size:           4
        .value_kind:     by_value
      - .offset:         52
        .size:           4
        .value_kind:     by_value
      - .offset:         56
        .size:           4
        .value_kind:     by_value
    .group_segment_fixed_size: 0
    .kernarg_segment_align: 8
    .kernarg_segment_size: 60
    .language:       OpenCL C
    .language_version:
      - 2
      - 0
    .max_flat_workgroup_size: 256
    .name:           _ZN4vllm3moe17topkGatingSoftmaxILi1ELi1ELi4ELi4ELi64EjEEvPKfPKbPfiPT4_Piiii
    .private_segment_fixed_size: 0
    .sgpr_count:     24
    .sgpr_spill_count: 0
    .symbol:         _ZN4vllm3moe17topkGatingSoftmaxILi1ELi1ELi4ELi4ELi64EjEEvPKfPKbPfiPT4_Piiii.kd
    .uniform_work_group_size: 1
    .uses_dynamic_stack: false
    .vgpr_count:     14
    .vgpr_spill_count: 0
    .wavefront_size: 64
  - .agpr_count:     0
    .args:
      - .address_space:  global
        .offset:         0
        .size:           8
        .value_kind:     global_buffer
      - .address_space:  global
        .offset:         8
        .size:           8
        .value_kind:     global_buffer
      - .address_space:  global
        .offset:         16
        .size:           8
        .value_kind:     global_buffer
      - .offset:         24
        .size:           4
        .value_kind:     by_value
      - .address_space:  global
        .offset:         32
        .size:           8
        .value_kind:     global_buffer
      - .address_space:  global
        .offset:         40
        .size:           8
        .value_kind:     global_buffer
      - .offset:         48
        .size:           4
        .value_kind:     by_value
      - .offset:         52
        .size:           4
        .value_kind:     by_value
      - .offset:         56
        .size:           4
        .value_kind:     by_value
    .group_segment_fixed_size: 0
    .kernarg_segment_align: 8
    .kernarg_segment_size: 60
    .language:       OpenCL C
    .language_version:
      - 2
      - 0
    .max_flat_workgroup_size: 128
    .name:           _ZN4vllm3moe17topkGatingSoftmaxILi1ELi1ELi4ELi4ELi32EjEEvPKfPKbPfiPT4_Piiii
    .private_segment_fixed_size: 0
    .sgpr_count:     24
    .sgpr_spill_count: 0
    .symbol:         _ZN4vllm3moe17topkGatingSoftmaxILi1ELi1ELi4ELi4ELi32EjEEvPKfPKbPfiPT4_Piiii.kd
    .uniform_work_group_size: 1
    .uses_dynamic_stack: false
    .vgpr_count:     14
    .vgpr_spill_count: 0
    .wavefront_size: 64
  - .agpr_count:     0
    .args:
      - .address_space:  global
        .offset:         0
        .size:           8
        .value_kind:     global_buffer
      - .address_space:  global
        .offset:         8
        .size:           8
        .value_kind:     global_buffer
      - .address_space:  global
        .offset:         16
        .size:           8
        .value_kind:     global_buffer
      - .offset:         24
        .size:           4
        .value_kind:     by_value
      - .address_space:  global
        .offset:         32
        .size:           8
        .value_kind:     global_buffer
      - .address_space:  global
        .offset:         40
        .size:           8
        .value_kind:     global_buffer
      - .offset:         48
        .size:           4
        .value_kind:     by_value
      - .offset:         52
        .size:           4
        .value_kind:     by_value
      - .offset:         56
        .size:           4
        .value_kind:     by_value
    .group_segment_fixed_size: 0
    .kernarg_segment_align: 8
    .kernarg_segment_size: 60
    .language:       OpenCL C
    .language_version:
      - 2
      - 0
    .max_flat_workgroup_size: 256
    .name:           _ZN4vllm3moe17topkGatingSoftmaxILi2ELi2ELi4ELi8ELi64EjEEvPKfPKbPfiPT4_Piiii
    .private_segment_fixed_size: 0
    .sgpr_count:     20
    .sgpr_spill_count: 0
    .symbol:         _ZN4vllm3moe17topkGatingSoftmaxILi2ELi2ELi4ELi8ELi64EjEEvPKfPKbPfiPT4_Piiii.kd
    .uniform_work_group_size: 1
    .uses_dynamic_stack: false
    .vgpr_count:     16
    .vgpr_spill_count: 0
    .wavefront_size: 64
  - .agpr_count:     0
    .args:
      - .address_space:  global
        .offset:         0
        .size:           8
        .value_kind:     global_buffer
      - .address_space:  global
        .offset:         8
        .size:           8
        .value_kind:     global_buffer
      - .address_space:  global
        .offset:         16
        .size:           8
        .value_kind:     global_buffer
      - .offset:         24
        .size:           4
        .value_kind:     by_value
      - .address_space:  global
        .offset:         32
        .size:           8
        .value_kind:     global_buffer
      - .address_space:  global
        .offset:         40
        .size:           8
        .value_kind:     global_buffer
      - .offset:         48
        .size:           4
        .value_kind:     by_value
      - .offset:         52
        .size:           4
        .value_kind:     by_value
      - .offset:         56
        .size:           4
        .value_kind:     by_value
    .group_segment_fixed_size: 0
    .kernarg_segment_align: 8
    .kernarg_segment_size: 60
    .language:       OpenCL C
    .language_version:
      - 2
      - 0
    .max_flat_workgroup_size: 128
    .name:           _ZN4vllm3moe17topkGatingSoftmaxILi2ELi2ELi4ELi8ELi32EjEEvPKfPKbPfiPT4_Piiii
    .private_segment_fixed_size: 0
    .sgpr_count:     20
    .sgpr_spill_count: 0
    .symbol:         _ZN4vllm3moe17topkGatingSoftmaxILi2ELi2ELi4ELi8ELi32EjEEvPKfPKbPfiPT4_Piiii.kd
    .uniform_work_group_size: 1
    .uses_dynamic_stack: false
    .vgpr_count:     16
    .vgpr_spill_count: 0
    .wavefront_size: 64
  - .agpr_count:     0
    .args:
      - .address_space:  global
        .offset:         0
        .size:           8
        .value_kind:     global_buffer
      - .address_space:  global
        .offset:         8
        .size:           8
        .value_kind:     global_buffer
      - .address_space:  global
        .offset:         16
        .size:           8
        .value_kind:     global_buffer
      - .offset:         24
        .size:           4
        .value_kind:     by_value
      - .address_space:  global
        .offset:         32
        .size:           8
        .value_kind:     global_buffer
      - .address_space:  global
        .offset:         40
        .size:           8
        .value_kind:     global_buffer
      - .offset:         48
        .size:           4
        .value_kind:     by_value
      - .offset:         52
        .size:           4
        .value_kind:     by_value
      - .offset:         56
        .size:           4
        .value_kind:     by_value
    .group_segment_fixed_size: 4096
    .kernarg_segment_align: 8
    .kernarg_segment_size: 60
    .language:       OpenCL C
    .language_version:
      - 2
      - 0
    .max_flat_workgroup_size: 256
    .name:           _ZN4vllm3moe17topkGatingSoftmaxILi4ELi4ELi4ELi16ELi64EjEEvPKfPKbPfiPT4_Piiii
    .private_segment_fixed_size: 0
    .sgpr_count:     24
    .sgpr_spill_count: 0
    .symbol:         _ZN4vllm3moe17topkGatingSoftmaxILi4ELi4ELi4ELi16ELi64EjEEvPKfPKbPfiPT4_Piiii.kd
    .uniform_work_group_size: 1
    .uses_dynamic_stack: false
    .vgpr_count:     20
    .vgpr_spill_count: 0
    .wavefront_size: 64
  - .agpr_count:     0
    .args:
      - .address_space:  global
        .offset:         0
        .size:           8
        .value_kind:     global_buffer
      - .address_space:  global
        .offset:         8
        .size:           8
        .value_kind:     global_buffer
      - .address_space:  global
        .offset:         16
        .size:           8
        .value_kind:     global_buffer
      - .offset:         24
        .size:           4
        .value_kind:     by_value
      - .address_space:  global
        .offset:         32
        .size:           8
        .value_kind:     global_buffer
      - .address_space:  global
        .offset:         40
        .size:           8
        .value_kind:     global_buffer
      - .offset:         48
        .size:           4
        .value_kind:     by_value
      - .offset:         52
        .size:           4
        .value_kind:     by_value
      - .offset:         56
        .size:           4
        .value_kind:     by_value
    .group_segment_fixed_size: 2048
    .kernarg_segment_align: 8
    .kernarg_segment_size: 60
    .language:       OpenCL C
    .language_version:
      - 2
      - 0
    .max_flat_workgroup_size: 128
    .name:           _ZN4vllm3moe17topkGatingSoftmaxILi4ELi4ELi4ELi16ELi32EjEEvPKfPKbPfiPT4_Piiii
    .private_segment_fixed_size: 0
    .sgpr_count:     24
    .sgpr_spill_count: 0
    .symbol:         _ZN4vllm3moe17topkGatingSoftmaxILi4ELi4ELi4ELi16ELi32EjEEvPKfPKbPfiPT4_Piiii.kd
    .uniform_work_group_size: 1
    .uses_dynamic_stack: false
    .vgpr_count:     20
    .vgpr_spill_count: 0
    .wavefront_size: 64
  - .agpr_count:     0
    .args:
      - .address_space:  global
        .offset:         0
        .size:           8
        .value_kind:     global_buffer
      - .address_space:  global
        .offset:         8
        .size:           8
        .value_kind:     global_buffer
      - .address_space:  global
        .offset:         16
        .size:           8
        .value_kind:     global_buffer
      - .offset:         24
        .size:           4
        .value_kind:     by_value
      - .address_space:  global
        .offset:         32
        .size:           8
        .value_kind:     global_buffer
      - .address_space:  global
        .offset:         40
        .size:           8
        .value_kind:     global_buffer
      - .offset:         48
        .size:           4
        .value_kind:     by_value
      - .offset:         52
        .size:           4
        .value_kind:     by_value
      - .offset:         56
        .size:           4
        .value_kind:     by_value
    .group_segment_fixed_size: 4096
    .kernarg_segment_align: 8
    .kernarg_segment_size: 60
    .language:       OpenCL C
    .language_version:
      - 2
      - 0
    .max_flat_workgroup_size: 256
    .name:           _ZN4vllm3moe17topkGatingSoftmaxILi4ELi8ELi4ELi16ELi64EjEEvPKfPKbPfiPT4_Piiii
    .private_segment_fixed_size: 0
    .sgpr_count:     25
    .sgpr_spill_count: 0
    .symbol:         _ZN4vllm3moe17topkGatingSoftmaxILi4ELi8ELi4ELi16ELi64EjEEvPKfPKbPfiPT4_Piiii.kd
    .uniform_work_group_size: 1
    .uses_dynamic_stack: false
    .vgpr_count:     23
    .vgpr_spill_count: 0
    .wavefront_size: 64
  - .agpr_count:     0
    .args:
      - .address_space:  global
        .offset:         0
        .size:           8
        .value_kind:     global_buffer
      - .address_space:  global
        .offset:         8
        .size:           8
        .value_kind:     global_buffer
      - .address_space:  global
        .offset:         16
        .size:           8
        .value_kind:     global_buffer
      - .offset:         24
        .size:           4
        .value_kind:     by_value
      - .address_space:  global
        .offset:         32
        .size:           8
        .value_kind:     global_buffer
      - .address_space:  global
        .offset:         40
        .size:           8
        .value_kind:     global_buffer
      - .offset:         48
        .size:           4
        .value_kind:     by_value
      - .offset:         52
        .size:           4
        .value_kind:     by_value
      - .offset:         56
        .size:           4
        .value_kind:     by_value
    .group_segment_fixed_size: 2048
    .kernarg_segment_align: 8
    .kernarg_segment_size: 60
    .language:       OpenCL C
    .language_version:
      - 2
      - 0
    .max_flat_workgroup_size: 128
    .name:           _ZN4vllm3moe17topkGatingSoftmaxILi4ELi8ELi4ELi16ELi32EjEEvPKfPKbPfiPT4_Piiii
    .private_segment_fixed_size: 0
    .sgpr_count:     25
    .sgpr_spill_count: 0
    .symbol:         _ZN4vllm3moe17topkGatingSoftmaxILi4ELi8ELi4ELi16ELi32EjEEvPKfPKbPfiPT4_Piiii.kd
    .uniform_work_group_size: 1
    .uses_dynamic_stack: false
    .vgpr_count:     23
    .vgpr_spill_count: 0
    .wavefront_size: 64
  - .agpr_count:     0
    .args:
      - .address_space:  global
        .offset:         0
        .size:           8
        .value_kind:     global_buffer
      - .address_space:  global
        .offset:         8
        .size:           8
        .value_kind:     global_buffer
      - .address_space:  global
        .offset:         16
        .size:           8
        .value_kind:     global_buffer
      - .offset:         24
        .size:           4
        .value_kind:     by_value
      - .address_space:  global
        .offset:         32
        .size:           8
        .value_kind:     global_buffer
      - .address_space:  global
        .offset:         40
        .size:           8
        .value_kind:     global_buffer
      - .offset:         48
        .size:           4
        .value_kind:     by_value
      - .offset:         52
        .size:           4
        .value_kind:     by_value
      - .offset:         56
        .size:           4
        .value_kind:     by_value
    .group_segment_fixed_size: 4096
    .kernarg_segment_align: 8
    .kernarg_segment_size: 60
    .language:       OpenCL C
    .language_version:
      - 2
      - 0
    .max_flat_workgroup_size: 256
    .name:           _ZN4vllm3moe17topkGatingSoftmaxILi4ELi16ELi4ELi16ELi64EjEEvPKfPKbPfiPT4_Piiii
    .private_segment_fixed_size: 0
    .sgpr_count:     25
    .sgpr_spill_count: 0
    .symbol:         _ZN4vllm3moe17topkGatingSoftmaxILi4ELi16ELi4ELi16ELi64EjEEvPKfPKbPfiPT4_Piiii.kd
    .uniform_work_group_size: 1
    .uses_dynamic_stack: false
    .vgpr_count:     24
    .vgpr_spill_count: 0
    .wavefront_size: 64
  - .agpr_count:     0
    .args:
      - .address_space:  global
        .offset:         0
        .size:           8
        .value_kind:     global_buffer
      - .address_space:  global
        .offset:         8
        .size:           8
        .value_kind:     global_buffer
      - .address_space:  global
        .offset:         16
        .size:           8
        .value_kind:     global_buffer
      - .offset:         24
        .size:           4
        .value_kind:     by_value
      - .address_space:  global
        .offset:         32
        .size:           8
        .value_kind:     global_buffer
      - .address_space:  global
        .offset:         40
        .size:           8
        .value_kind:     global_buffer
      - .offset:         48
        .size:           4
        .value_kind:     by_value
      - .offset:         52
        .size:           4
        .value_kind:     by_value
      - .offset:         56
        .size:           4
        .value_kind:     by_value
    .group_segment_fixed_size: 2048
    .kernarg_segment_align: 8
    .kernarg_segment_size: 60
    .language:       OpenCL C
    .language_version:
      - 2
      - 0
    .max_flat_workgroup_size: 128
    .name:           _ZN4vllm3moe17topkGatingSoftmaxILi4ELi16ELi4ELi16ELi32EjEEvPKfPKbPfiPT4_Piiii
    .private_segment_fixed_size: 0
    .sgpr_count:     25
    .sgpr_spill_count: 0
    .symbol:         _ZN4vllm3moe17topkGatingSoftmaxILi4ELi16ELi4ELi16ELi32EjEEvPKfPKbPfiPT4_Piiii.kd
    .uniform_work_group_size: 1
    .uses_dynamic_stack: false
    .vgpr_count:     24
    .vgpr_spill_count: 0
    .wavefront_size: 64
  - .agpr_count:     0
    .args:
      - .address_space:  global
        .offset:         0
        .size:           8
        .value_kind:     global_buffer
      - .address_space:  global
        .offset:         8
        .size:           8
        .value_kind:     global_buffer
      - .address_space:  global
        .offset:         16
        .size:           8
        .value_kind:     global_buffer
      - .offset:         24
        .size:           4
        .value_kind:     by_value
      - .address_space:  global
        .offset:         32
        .size:           8
        .value_kind:     global_buffer
      - .address_space:  global
        .offset:         40
        .size:           8
        .value_kind:     global_buffer
      - .offset:         48
        .size:           4
        .value_kind:     by_value
      - .offset:         52
        .size:           4
        .value_kind:     by_value
      - .offset:         56
        .size:           4
        .value_kind:     by_value
    .group_segment_fixed_size: 4096
    .kernarg_segment_align: 8
    .kernarg_segment_size: 60
    .language:       OpenCL C
    .language_version:
      - 2
      - 0
    .max_flat_workgroup_size: 256
    .name:           _ZN4vllm3moe17topkGatingSoftmaxILi4ELi32ELi4ELi16ELi64EjEEvPKfPKbPfiPT4_Piiii
    .private_segment_fixed_size: 0
    .sgpr_count:     25
    .sgpr_spill_count: 0
    .symbol:         _ZN4vllm3moe17topkGatingSoftmaxILi4ELi32ELi4ELi16ELi64EjEEvPKfPKbPfiPT4_Piiii.kd
    .uniform_work_group_size: 1
    .uses_dynamic_stack: false
    .vgpr_count:     25
    .vgpr_spill_count: 0
    .wavefront_size: 64
  - .agpr_count:     0
    .args:
      - .address_space:  global
        .offset:         0
        .size:           8
        .value_kind:     global_buffer
      - .address_space:  global
        .offset:         8
        .size:           8
        .value_kind:     global_buffer
      - .address_space:  global
        .offset:         16
        .size:           8
        .value_kind:     global_buffer
      - .offset:         24
        .size:           4
        .value_kind:     by_value
      - .address_space:  global
        .offset:         32
        .size:           8
        .value_kind:     global_buffer
      - .address_space:  global
        .offset:         40
        .size:           8
        .value_kind:     global_buffer
      - .offset:         48
        .size:           4
        .value_kind:     by_value
      - .offset:         52
        .size:           4
        .value_kind:     by_value
      - .offset:         56
        .size:           4
        .value_kind:     by_value
    .group_segment_fixed_size: 2048
    .kernarg_segment_align: 8
    .kernarg_segment_size: 60
    .language:       OpenCL C
    .language_version:
      - 2
      - 0
    .max_flat_workgroup_size: 128
    .name:           _ZN4vllm3moe17topkGatingSoftmaxILi4ELi32ELi4ELi16ELi32EjEEvPKfPKbPfiPT4_Piiii
    .private_segment_fixed_size: 0
    .sgpr_count:     25
    .sgpr_spill_count: 0
    .symbol:         _ZN4vllm3moe17topkGatingSoftmaxILi4ELi32ELi4ELi16ELi32EjEEvPKfPKbPfiPT4_Piiii.kd
    .uniform_work_group_size: 1
    .uses_dynamic_stack: false
    .vgpr_count:     25
    .vgpr_spill_count: 0
    .wavefront_size: 64
  - .agpr_count:     0
    .args:
      - .address_space:  global
        .offset:         0
        .size:           8
        .value_kind:     global_buffer
      - .address_space:  global
        .offset:         8
        .size:           8
        .value_kind:     global_buffer
      - .address_space:  global
        .offset:         16
        .size:           8
        .value_kind:     global_buffer
      - .offset:         24
        .size:           4
        .value_kind:     by_value
      - .address_space:  global
        .offset:         32
        .size:           8
        .value_kind:     global_buffer
      - .address_space:  global
        .offset:         40
        .size:           8
        .value_kind:     global_buffer
      - .offset:         48
        .size:           4
        .value_kind:     by_value
      - .offset:         52
        .size:           4
        .value_kind:     by_value
      - .offset:         56
        .size:           4
        .value_kind:     by_value
    .group_segment_fixed_size: 4096
    .kernarg_segment_align: 8
    .kernarg_segment_size: 60
    .language:       OpenCL C
    .language_version:
      - 2
      - 0
    .max_flat_workgroup_size: 256
    .name:           _ZN4vllm3moe17topkGatingSoftmaxILi4ELi64ELi4ELi16ELi64EjEEvPKfPKbPfiPT4_Piiii
    .private_segment_fixed_size: 0
    .sgpr_count:     25
    .sgpr_spill_count: 0
    .symbol:         _ZN4vllm3moe17topkGatingSoftmaxILi4ELi64ELi4ELi16ELi64EjEEvPKfPKbPfiPT4_Piiii.kd
    .uniform_work_group_size: 1
    .uses_dynamic_stack: false
    .vgpr_count:     26
    .vgpr_spill_count: 0
    .wavefront_size: 64
  - .agpr_count:     0
    .args:
      - .address_space:  global
        .offset:         0
        .size:           8
        .value_kind:     global_buffer
      - .address_space:  global
        .offset:         8
        .size:           8
        .value_kind:     global_buffer
      - .address_space:  global
        .offset:         16
        .size:           8
        .value_kind:     global_buffer
      - .offset:         24
        .size:           4
        .value_kind:     by_value
      - .address_space:  global
        .offset:         32
        .size:           8
        .value_kind:     global_buffer
      - .address_space:  global
        .offset:         40
        .size:           8
        .value_kind:     global_buffer
      - .offset:         48
        .size:           4
        .value_kind:     by_value
      - .offset:         52
        .size:           4
        .value_kind:     by_value
      - .offset:         56
        .size:           4
        .value_kind:     by_value
    .group_segment_fixed_size: 2048
    .kernarg_segment_align: 8
    .kernarg_segment_size: 60
    .language:       OpenCL C
    .language_version:
      - 2
      - 0
    .max_flat_workgroup_size: 128
    .name:           _ZN4vllm3moe17topkGatingSoftmaxILi4ELi64ELi4ELi16ELi32EjEEvPKfPKbPfiPT4_Piiii
    .private_segment_fixed_size: 0
    .sgpr_count:     25
    .sgpr_spill_count: 0
    .symbol:         _ZN4vllm3moe17topkGatingSoftmaxILi4ELi64ELi4ELi16ELi32EjEEvPKfPKbPfiPT4_Piiii.kd
    .uniform_work_group_size: 1
    .uses_dynamic_stack: false
    .vgpr_count:     26
    .vgpr_spill_count: 0
    .wavefront_size: 64
  - .agpr_count:     0
    .args:
      - .address_space:  global
        .offset:         0
        .size:           8
        .value_kind:     global_buffer
      - .address_space:  global
        .offset:         8
        .size:           8
        .value_kind:     global_buffer
      - .address_space:  global
        .offset:         16
        .size:           8
        .value_kind:     global_buffer
      - .offset:         24
        .size:           4
        .value_kind:     by_value
      - .address_space:  global
        .offset:         32
        .size:           8
        .value_kind:     global_buffer
      - .address_space:  global
        .offset:         40
        .size:           8
        .value_kind:     global_buffer
      - .offset:         48
        .size:           4
        .value_kind:     by_value
      - .offset:         52
        .size:           4
        .value_kind:     by_value
      - .offset:         56
        .size:           4
        .value_kind:     by_value
    .group_segment_fixed_size: 4096
    .kernarg_segment_align: 8
    .kernarg_segment_size: 60
    .language:       OpenCL C
    .language_version:
      - 2
      - 0
    .max_flat_workgroup_size: 256
    .name:           _ZN4vllm3moe17topkGatingSoftmaxILi4ELi128ELi4ELi16ELi64EjEEvPKfPKbPfiPT4_Piiii
    .private_segment_fixed_size: 0
    .sgpr_count:     25
    .sgpr_spill_count: 0
    .symbol:         _ZN4vllm3moe17topkGatingSoftmaxILi4ELi128ELi4ELi16ELi64EjEEvPKfPKbPfiPT4_Piiii.kd
    .uniform_work_group_size: 1
    .uses_dynamic_stack: false
    .vgpr_count:     27
    .vgpr_spill_count: 0
    .wavefront_size: 64
  - .agpr_count:     0
    .args:
      - .address_space:  global
        .offset:         0
        .size:           8
        .value_kind:     global_buffer
      - .address_space:  global
        .offset:         8
        .size:           8
        .value_kind:     global_buffer
      - .address_space:  global
        .offset:         16
        .size:           8
        .value_kind:     global_buffer
      - .offset:         24
        .size:           4
        .value_kind:     by_value
      - .address_space:  global
        .offset:         32
        .size:           8
        .value_kind:     global_buffer
      - .address_space:  global
        .offset:         40
        .size:           8
        .value_kind:     global_buffer
      - .offset:         48
        .size:           4
        .value_kind:     by_value
      - .offset:         52
        .size:           4
        .value_kind:     by_value
      - .offset:         56
        .size:           4
        .value_kind:     by_value
    .group_segment_fixed_size: 2048
    .kernarg_segment_align: 8
    .kernarg_segment_size: 60
    .language:       OpenCL C
    .language_version:
      - 2
      - 0
    .max_flat_workgroup_size: 128
    .name:           _ZN4vllm3moe17topkGatingSoftmaxILi4ELi128ELi4ELi16ELi32EjEEvPKfPKbPfiPT4_Piiii
    .private_segment_fixed_size: 0
    .sgpr_count:     25
    .sgpr_spill_count: 0
    .symbol:         _ZN4vllm3moe17topkGatingSoftmaxILi4ELi128ELi4ELi16ELi32EjEEvPKfPKbPfiPT4_Piiii.kd
    .uniform_work_group_size: 1
    .uses_dynamic_stack: false
    .vgpr_count:     27
    .vgpr_spill_count: 0
    .wavefront_size: 64
  - .agpr_count:     0
    .args:
      - .address_space:  global
        .offset:         0
        .size:           8
        .value_kind:     global_buffer
      - .address_space:  global
        .offset:         8
        .size:           8
        .value_kind:     global_buffer
      - .address_space:  global
        .offset:         16
        .size:           8
        .value_kind:     global_buffer
      - .offset:         24
        .size:           4
        .value_kind:     by_value
      - .address_space:  global
        .offset:         32
        .size:           8
        .value_kind:     global_buffer
      - .address_space:  global
        .offset:         40
        .size:           8
        .value_kind:     global_buffer
      - .offset:         48
        .size:           4
        .value_kind:     by_value
      - .offset:         52
        .size:           4
        .value_kind:     by_value
      - .offset:         56
        .size:           4
        .value_kind:     by_value
    .group_segment_fixed_size: 4096
    .kernarg_segment_align: 8
    .kernarg_segment_size: 60
    .language:       OpenCL C
    .language_version:
      - 2
      - 0
    .max_flat_workgroup_size: 256
    .name:           _ZN4vllm3moe17topkGatingSoftmaxILi4ELi256ELi4ELi16ELi64EjEEvPKfPKbPfiPT4_Piiii
    .private_segment_fixed_size: 0
    .sgpr_count:     25
    .sgpr_spill_count: 0
    .symbol:         _ZN4vllm3moe17topkGatingSoftmaxILi4ELi256ELi4ELi16ELi64EjEEvPKfPKbPfiPT4_Piiii.kd
    .uniform_work_group_size: 1
    .uses_dynamic_stack: false
    .vgpr_count:     28
    .vgpr_spill_count: 0
    .wavefront_size: 64
  - .agpr_count:     0
    .args:
      - .address_space:  global
        .offset:         0
        .size:           8
        .value_kind:     global_buffer
      - .address_space:  global
        .offset:         8
        .size:           8
        .value_kind:     global_buffer
      - .address_space:  global
        .offset:         16
        .size:           8
        .value_kind:     global_buffer
      - .offset:         24
        .size:           4
        .value_kind:     by_value
      - .address_space:  global
        .offset:         32
        .size:           8
        .value_kind:     global_buffer
      - .address_space:  global
        .offset:         40
        .size:           8
        .value_kind:     global_buffer
      - .offset:         48
        .size:           4
        .value_kind:     by_value
      - .offset:         52
        .size:           4
        .value_kind:     by_value
      - .offset:         56
        .size:           4
        .value_kind:     by_value
    .group_segment_fixed_size: 4096
    .kernarg_segment_align: 8
    .kernarg_segment_size: 60
    .language:       OpenCL C
    .language_version:
      - 2
      - 0
    .max_flat_workgroup_size: 128
    .name:           _ZN4vllm3moe17topkGatingSoftmaxILi8ELi256ELi4ELi16ELi32EjEEvPKfPKbPfiPT4_Piiii
    .private_segment_fixed_size: 0
    .sgpr_count:     25
    .sgpr_spill_count: 0
    .symbol:         _ZN4vllm3moe17topkGatingSoftmaxILi8ELi256ELi4ELi16ELi32EjEEvPKfPKbPfiPT4_Piiii.kd
    .uniform_work_group_size: 1
    .uses_dynamic_stack: false
    .vgpr_count:     38
    .vgpr_spill_count: 0
    .wavefront_size: 64
  - .agpr_count:     0
    .args:
      - .address_space:  global
        .offset:         0
        .size:           8
        .value_kind:     global_buffer
      - .address_space:  global
        .offset:         8
        .size:           8
        .value_kind:     global_buffer
      - .address_space:  global
        .offset:         16
        .size:           8
        .value_kind:     global_buffer
      - .offset:         24
        .size:           4
        .value_kind:     by_value
      - .address_space:  global
        .offset:         32
        .size:           8
        .value_kind:     global_buffer
      - .address_space:  global
        .offset:         40
        .size:           8
        .value_kind:     global_buffer
      - .offset:         48
        .size:           4
        .value_kind:     by_value
      - .offset:         52
        .size:           4
        .value_kind:     by_value
      - .offset:         56
        .size:           4
        .value_kind:     by_value
    .group_segment_fixed_size: 8192
    .kernarg_segment_align: 8
    .kernarg_segment_size: 60
    .language:       OpenCL C
    .language_version:
      - 2
      - 0
    .max_flat_workgroup_size: 256
    .name:           _ZN4vllm3moe17topkGatingSoftmaxILi8ELi512ELi4ELi16ELi64EjEEvPKfPKbPfiPT4_Piiii
    .private_segment_fixed_size: 0
    .sgpr_count:     25
    .sgpr_spill_count: 0
    .symbol:         _ZN4vllm3moe17topkGatingSoftmaxILi8ELi512ELi4ELi16ELi64EjEEvPKfPKbPfiPT4_Piiii.kd
    .uniform_work_group_size: 1
    .uses_dynamic_stack: false
    .vgpr_count:     39
    .vgpr_spill_count: 0
    .wavefront_size: 64
  - .agpr_count:     0
    .args:
      - .address_space:  global
        .offset:         0
        .size:           8
        .value_kind:     global_buffer
      - .address_space:  global
        .offset:         8
        .size:           8
        .value_kind:     global_buffer
      - .address_space:  global
        .offset:         16
        .size:           8
        .value_kind:     global_buffer
      - .offset:         24
        .size:           4
        .value_kind:     by_value
      - .address_space:  global
        .offset:         32
        .size:           8
        .value_kind:     global_buffer
      - .address_space:  global
        .offset:         40
        .size:           8
        .value_kind:     global_buffer
      - .offset:         48
        .size:           4
        .value_kind:     by_value
      - .offset:         52
        .size:           4
        .value_kind:     by_value
      - .offset:         56
        .size:           4
        .value_kind:     by_value
    .group_segment_fixed_size: 0
    .kernarg_segment_align: 8
    .kernarg_segment_size: 60
    .language:       OpenCL C
    .language_version:
      - 2
      - 0
    .max_flat_workgroup_size: 128
    .name:           _ZN4vllm3moe17topkGatingSoftmaxILi16ELi512ELi4ELi16ELi32EjEEvPKfPKbPfiPT4_Piiii
    .private_segment_fixed_size: 80
    .sgpr_count:     29
    .sgpr_spill_count: 0
    .symbol:         _ZN4vllm3moe17topkGatingSoftmaxILi16ELi512ELi4ELi16ELi32EjEEvPKfPKbPfiPT4_Piiii.kd
    .uniform_work_group_size: 1
    .uses_dynamic_stack: false
    .vgpr_count:     49
    .vgpr_spill_count: 0
    .wavefront_size: 64
  - .agpr_count:     0
    .args:
      - .address_space:  global
        .offset:         0
        .size:           8
        .value_kind:     global_buffer
      - .address_space:  global
        .offset:         8
        .size:           8
        .value_kind:     global_buffer
      - .address_space:  global
        .offset:         16
        .size:           8
        .value_kind:     global_buffer
      - .address_space:  global
        .offset:         24
        .size:           8
        .value_kind:     global_buffer
      - .address_space:  global
        .offset:         32
        .size:           8
        .value_kind:     global_buffer
      - .offset:         40
        .size:           4
        .value_kind:     by_value
      - .offset:         44
        .size:           4
        .value_kind:     by_value
      - .offset:         48
        .size:           4
        .value_kind:     by_value
      - .offset:         52
        .size:           4
        .value_kind:     by_value
      - .offset:         56
        .size:           4
        .value_kind:     hidden_block_count_x
      - .offset:         60
        .size:           4
        .value_kind:     hidden_block_count_y
      - .offset:         64
        .size:           4
        .value_kind:     hidden_block_count_z
      - .offset:         68
        .size:           2
        .value_kind:     hidden_group_size_x
      - .offset:         70
        .size:           2
        .value_kind:     hidden_group_size_y
      - .offset:         72
        .size:           2
        .value_kind:     hidden_group_size_z
      - .offset:         74
        .size:           2
        .value_kind:     hidden_remainder_x
      - .offset:         76
        .size:           2
        .value_kind:     hidden_remainder_y
      - .offset:         78
        .size:           2
        .value_kind:     hidden_remainder_z
      - .offset:         96
        .size:           8
        .value_kind:     hidden_global_offset_x
      - .offset:         104
        .size:           8
        .value_kind:     hidden_global_offset_y
      - .offset:         112
        .size:           8
        .value_kind:     hidden_global_offset_z
      - .offset:         120
        .size:           2
        .value_kind:     hidden_grid_dims
    .group_segment_fixed_size: 32
    .kernarg_segment_align: 8
    .kernarg_segment_size: 312
    .language:       OpenCL C
    .language_version:
      - 2
      - 0
    .max_flat_workgroup_size: 256
    .name:           _ZN4vllm3moe7moeTopKILi256EjEEvPKfPKbPfPT0_Piiiii
    .private_segment_fixed_size: 0
    .sgpr_count:     45
    .sgpr_spill_count: 0
    .symbol:         _ZN4vllm3moe7moeTopKILi256EjEEvPKfPKbPfPT0_Piiiii.kd
    .uniform_work_group_size: 1
    .uses_dynamic_stack: false
    .vgpr_count:     13
    .vgpr_spill_count: 0
    .wavefront_size: 64
  - .agpr_count:     0
    .args:
      - .address_space:  global
        .offset:         0
        .size:           8
        .value_kind:     global_buffer
      - .address_space:  global
        .offset:         8
        .size:           8
        .value_kind:     global_buffer
      - .address_space:  global
        .offset:         16
        .size:           8
        .value_kind:     global_buffer
      - .offset:         24
        .size:           4
        .value_kind:     by_value
      - .address_space:  global
        .offset:         32
        .size:           8
        .value_kind:     global_buffer
      - .address_space:  global
        .offset:         40
        .size:           8
        .value_kind:     global_buffer
      - .offset:         48
        .size:           4
        .value_kind:     by_value
      - .offset:         52
        .size:           4
        .value_kind:     by_value
      - .offset:         56
        .size:           4
        .value_kind:     by_value
    .group_segment_fixed_size: 0
    .kernarg_segment_align: 8
    .kernarg_segment_size: 60
    .language:       OpenCL C
    .language_version:
      - 2
      - 0
    .max_flat_workgroup_size: 256
    .name:           _ZN4vllm3moe17topkGatingSoftmaxILi1ELi1ELi4ELi4ELi64ElEEvPKfPKbPfiPT4_Piiii
    .private_segment_fixed_size: 0
    .sgpr_count:     24
    .sgpr_spill_count: 0
    .symbol:         _ZN4vllm3moe17topkGatingSoftmaxILi1ELi1ELi4ELi4ELi64ElEEvPKfPKbPfiPT4_Piiii.kd
    .uniform_work_group_size: 1
    .uses_dynamic_stack: false
    .vgpr_count:     16
    .vgpr_spill_count: 0
    .wavefront_size: 64
  - .agpr_count:     0
    .args:
      - .address_space:  global
        .offset:         0
        .size:           8
        .value_kind:     global_buffer
      - .address_space:  global
        .offset:         8
        .size:           8
        .value_kind:     global_buffer
      - .address_space:  global
        .offset:         16
        .size:           8
        .value_kind:     global_buffer
      - .offset:         24
        .size:           4
        .value_kind:     by_value
      - .address_space:  global
        .offset:         32
        .size:           8
        .value_kind:     global_buffer
      - .address_space:  global
        .offset:         40
        .size:           8
        .value_kind:     global_buffer
      - .offset:         48
        .size:           4
        .value_kind:     by_value
      - .offset:         52
        .size:           4
        .value_kind:     by_value
      - .offset:         56
        .size:           4
        .value_kind:     by_value
    .group_segment_fixed_size: 0
    .kernarg_segment_align: 8
    .kernarg_segment_size: 60
    .language:       OpenCL C
    .language_version:
      - 2
      - 0
    .max_flat_workgroup_size: 128
    .name:           _ZN4vllm3moe17topkGatingSoftmaxILi1ELi1ELi4ELi4ELi32ElEEvPKfPKbPfiPT4_Piiii
    .private_segment_fixed_size: 0
    .sgpr_count:     24
    .sgpr_spill_count: 0
    .symbol:         _ZN4vllm3moe17topkGatingSoftmaxILi1ELi1ELi4ELi4ELi32ElEEvPKfPKbPfiPT4_Piiii.kd
    .uniform_work_group_size: 1
    .uses_dynamic_stack: false
    .vgpr_count:     16
    .vgpr_spill_count: 0
    .wavefront_size: 64
  - .agpr_count:     0
    .args:
      - .address_space:  global
        .offset:         0
        .size:           8
        .value_kind:     global_buffer
      - .address_space:  global
        .offset:         8
        .size:           8
        .value_kind:     global_buffer
      - .address_space:  global
        .offset:         16
        .size:           8
        .value_kind:     global_buffer
      - .offset:         24
        .size:           4
        .value_kind:     by_value
      - .address_space:  global
        .offset:         32
        .size:           8
        .value_kind:     global_buffer
      - .address_space:  global
        .offset:         40
        .size:           8
        .value_kind:     global_buffer
      - .offset:         48
        .size:           4
        .value_kind:     by_value
      - .offset:         52
        .size:           4
        .value_kind:     by_value
      - .offset:         56
        .size:           4
        .value_kind:     by_value
    .group_segment_fixed_size: 0
    .kernarg_segment_align: 8
    .kernarg_segment_size: 60
    .language:       OpenCL C
    .language_version:
      - 2
      - 0
    .max_flat_workgroup_size: 256
    .name:           _ZN4vllm3moe17topkGatingSoftmaxILi2ELi2ELi4ELi8ELi64ElEEvPKfPKbPfiPT4_Piiii
    .private_segment_fixed_size: 0
    .sgpr_count:     20
    .sgpr_spill_count: 0
    .symbol:         _ZN4vllm3moe17topkGatingSoftmaxILi2ELi2ELi4ELi8ELi64ElEEvPKfPKbPfiPT4_Piiii.kd
    .uniform_work_group_size: 1
    .uses_dynamic_stack: false
    .vgpr_count:     18
    .vgpr_spill_count: 0
    .wavefront_size: 64
  - .agpr_count:     0
    .args:
      - .address_space:  global
        .offset:         0
        .size:           8
        .value_kind:     global_buffer
      - .address_space:  global
        .offset:         8
        .size:           8
        .value_kind:     global_buffer
      - .address_space:  global
        .offset:         16
        .size:           8
        .value_kind:     global_buffer
      - .offset:         24
        .size:           4
        .value_kind:     by_value
      - .address_space:  global
        .offset:         32
        .size:           8
        .value_kind:     global_buffer
      - .address_space:  global
        .offset:         40
        .size:           8
        .value_kind:     global_buffer
      - .offset:         48
        .size:           4
        .value_kind:     by_value
      - .offset:         52
        .size:           4
        .value_kind:     by_value
      - .offset:         56
        .size:           4
        .value_kind:     by_value
    .group_segment_fixed_size: 0
    .kernarg_segment_align: 8
    .kernarg_segment_size: 60
    .language:       OpenCL C
    .language_version:
      - 2
      - 0
    .max_flat_workgroup_size: 128
    .name:           _ZN4vllm3moe17topkGatingSoftmaxILi2ELi2ELi4ELi8ELi32ElEEvPKfPKbPfiPT4_Piiii
    .private_segment_fixed_size: 0
    .sgpr_count:     20
    .sgpr_spill_count: 0
    .symbol:         _ZN4vllm3moe17topkGatingSoftmaxILi2ELi2ELi4ELi8ELi32ElEEvPKfPKbPfiPT4_Piiii.kd
    .uniform_work_group_size: 1
    .uses_dynamic_stack: false
    .vgpr_count:     18
    .vgpr_spill_count: 0
    .wavefront_size: 64
  - .agpr_count:     0
    .args:
      - .address_space:  global
        .offset:         0
        .size:           8
        .value_kind:     global_buffer
      - .address_space:  global
        .offset:         8
        .size:           8
        .value_kind:     global_buffer
      - .address_space:  global
        .offset:         16
        .size:           8
        .value_kind:     global_buffer
      - .offset:         24
        .size:           4
        .value_kind:     by_value
      - .address_space:  global
        .offset:         32
        .size:           8
        .value_kind:     global_buffer
      - .address_space:  global
        .offset:         40
        .size:           8
        .value_kind:     global_buffer
      - .offset:         48
        .size:           4
        .value_kind:     by_value
      - .offset:         52
        .size:           4
        .value_kind:     by_value
      - .offset:         56
        .size:           4
        .value_kind:     by_value
    .group_segment_fixed_size: 4096
    .kernarg_segment_align: 8
    .kernarg_segment_size: 60
    .language:       OpenCL C
    .language_version:
      - 2
      - 0
    .max_flat_workgroup_size: 256
    .name:           _ZN4vllm3moe17topkGatingSoftmaxILi4ELi4ELi4ELi16ELi64ElEEvPKfPKbPfiPT4_Piiii
    .private_segment_fixed_size: 0
    .sgpr_count:     24
    .sgpr_spill_count: 0
    .symbol:         _ZN4vllm3moe17topkGatingSoftmaxILi4ELi4ELi4ELi16ELi64ElEEvPKfPKbPfiPT4_Piiii.kd
    .uniform_work_group_size: 1
    .uses_dynamic_stack: false
    .vgpr_count:     20
    .vgpr_spill_count: 0
    .wavefront_size: 64
  - .agpr_count:     0
    .args:
      - .address_space:  global
        .offset:         0
        .size:           8
        .value_kind:     global_buffer
      - .address_space:  global
        .offset:         8
        .size:           8
        .value_kind:     global_buffer
      - .address_space:  global
        .offset:         16
        .size:           8
        .value_kind:     global_buffer
      - .offset:         24
        .size:           4
        .value_kind:     by_value
      - .address_space:  global
        .offset:         32
        .size:           8
        .value_kind:     global_buffer
      - .address_space:  global
        .offset:         40
        .size:           8
        .value_kind:     global_buffer
      - .offset:         48
        .size:           4
        .value_kind:     by_value
      - .offset:         52
        .size:           4
        .value_kind:     by_value
      - .offset:         56
        .size:           4
        .value_kind:     by_value
    .group_segment_fixed_size: 2048
    .kernarg_segment_align: 8
    .kernarg_segment_size: 60
    .language:       OpenCL C
    .language_version:
      - 2
      - 0
    .max_flat_workgroup_size: 128
    .name:           _ZN4vllm3moe17topkGatingSoftmaxILi4ELi4ELi4ELi16ELi32ElEEvPKfPKbPfiPT4_Piiii
    .private_segment_fixed_size: 0
    .sgpr_count:     24
    .sgpr_spill_count: 0
    .symbol:         _ZN4vllm3moe17topkGatingSoftmaxILi4ELi4ELi4ELi16ELi32ElEEvPKfPKbPfiPT4_Piiii.kd
    .uniform_work_group_size: 1
    .uses_dynamic_stack: false
    .vgpr_count:     20
    .vgpr_spill_count: 0
    .wavefront_size: 64
  - .agpr_count:     0
    .args:
      - .address_space:  global
        .offset:         0
        .size:           8
        .value_kind:     global_buffer
      - .address_space:  global
        .offset:         8
        .size:           8
        .value_kind:     global_buffer
      - .address_space:  global
        .offset:         16
        .size:           8
        .value_kind:     global_buffer
      - .offset:         24
        .size:           4
        .value_kind:     by_value
      - .address_space:  global
        .offset:         32
        .size:           8
        .value_kind:     global_buffer
      - .address_space:  global
        .offset:         40
        .size:           8
        .value_kind:     global_buffer
      - .offset:         48
        .size:           4
        .value_kind:     by_value
      - .offset:         52
        .size:           4
        .value_kind:     by_value
      - .offset:         56
        .size:           4
        .value_kind:     by_value
    .group_segment_fixed_size: 4096
    .kernarg_segment_align: 8
    .kernarg_segment_size: 60
    .language:       OpenCL C
    .language_version:
      - 2
      - 0
    .max_flat_workgroup_size: 256
    .name:           _ZN4vllm3moe17topkGatingSoftmaxILi4ELi8ELi4ELi16ELi64ElEEvPKfPKbPfiPT4_Piiii
    .private_segment_fixed_size: 0
    .sgpr_count:     25
    .sgpr_spill_count: 0
    .symbol:         _ZN4vllm3moe17topkGatingSoftmaxILi4ELi8ELi4ELi16ELi64ElEEvPKfPKbPfiPT4_Piiii.kd
    .uniform_work_group_size: 1
    .uses_dynamic_stack: false
    .vgpr_count:     23
    .vgpr_spill_count: 0
    .wavefront_size: 64
  - .agpr_count:     0
    .args:
      - .address_space:  global
        .offset:         0
        .size:           8
        .value_kind:     global_buffer
      - .address_space:  global
        .offset:         8
        .size:           8
        .value_kind:     global_buffer
      - .address_space:  global
        .offset:         16
        .size:           8
        .value_kind:     global_buffer
      - .offset:         24
        .size:           4
        .value_kind:     by_value
      - .address_space:  global
        .offset:         32
        .size:           8
        .value_kind:     global_buffer
      - .address_space:  global
        .offset:         40
        .size:           8
        .value_kind:     global_buffer
      - .offset:         48
        .size:           4
        .value_kind:     by_value
      - .offset:         52
        .size:           4
        .value_kind:     by_value
      - .offset:         56
        .size:           4
        .value_kind:     by_value
    .group_segment_fixed_size: 2048
    .kernarg_segment_align: 8
    .kernarg_segment_size: 60
    .language:       OpenCL C
    .language_version:
      - 2
      - 0
    .max_flat_workgroup_size: 128
    .name:           _ZN4vllm3moe17topkGatingSoftmaxILi4ELi8ELi4ELi16ELi32ElEEvPKfPKbPfiPT4_Piiii
    .private_segment_fixed_size: 0
    .sgpr_count:     25
    .sgpr_spill_count: 0
    .symbol:         _ZN4vllm3moe17topkGatingSoftmaxILi4ELi8ELi4ELi16ELi32ElEEvPKfPKbPfiPT4_Piiii.kd
    .uniform_work_group_size: 1
    .uses_dynamic_stack: false
    .vgpr_count:     23
    .vgpr_spill_count: 0
    .wavefront_size: 64
  - .agpr_count:     0
    .args:
      - .address_space:  global
        .offset:         0
        .size:           8
        .value_kind:     global_buffer
      - .address_space:  global
        .offset:         8
        .size:           8
        .value_kind:     global_buffer
      - .address_space:  global
        .offset:         16
        .size:           8
        .value_kind:     global_buffer
      - .offset:         24
        .size:           4
        .value_kind:     by_value
      - .address_space:  global
        .offset:         32
        .size:           8
        .value_kind:     global_buffer
      - .address_space:  global
        .offset:         40
        .size:           8
        .value_kind:     global_buffer
      - .offset:         48
        .size:           4
        .value_kind:     by_value
      - .offset:         52
        .size:           4
        .value_kind:     by_value
      - .offset:         56
        .size:           4
        .value_kind:     by_value
    .group_segment_fixed_size: 4096
    .kernarg_segment_align: 8
    .kernarg_segment_size: 60
    .language:       OpenCL C
    .language_version:
      - 2
      - 0
    .max_flat_workgroup_size: 256
    .name:           _ZN4vllm3moe17topkGatingSoftmaxILi4ELi16ELi4ELi16ELi64ElEEvPKfPKbPfiPT4_Piiii
    .private_segment_fixed_size: 0
    .sgpr_count:     25
    .sgpr_spill_count: 0
    .symbol:         _ZN4vllm3moe17topkGatingSoftmaxILi4ELi16ELi4ELi16ELi64ElEEvPKfPKbPfiPT4_Piiii.kd
    .uniform_work_group_size: 1
    .uses_dynamic_stack: false
    .vgpr_count:     24
    .vgpr_spill_count: 0
    .wavefront_size: 64
  - .agpr_count:     0
    .args:
      - .address_space:  global
        .offset:         0
        .size:           8
        .value_kind:     global_buffer
      - .address_space:  global
        .offset:         8
        .size:           8
        .value_kind:     global_buffer
      - .address_space:  global
        .offset:         16
        .size:           8
        .value_kind:     global_buffer
      - .offset:         24
        .size:           4
        .value_kind:     by_value
      - .address_space:  global
        .offset:         32
        .size:           8
        .value_kind:     global_buffer
      - .address_space:  global
        .offset:         40
        .size:           8
        .value_kind:     global_buffer
      - .offset:         48
        .size:           4
        .value_kind:     by_value
      - .offset:         52
        .size:           4
        .value_kind:     by_value
      - .offset:         56
        .size:           4
        .value_kind:     by_value
    .group_segment_fixed_size: 2048
    .kernarg_segment_align: 8
    .kernarg_segment_size: 60
    .language:       OpenCL C
    .language_version:
      - 2
      - 0
    .max_flat_workgroup_size: 128
    .name:           _ZN4vllm3moe17topkGatingSoftmaxILi4ELi16ELi4ELi16ELi32ElEEvPKfPKbPfiPT4_Piiii
    .private_segment_fixed_size: 0
    .sgpr_count:     25
    .sgpr_spill_count: 0
    .symbol:         _ZN4vllm3moe17topkGatingSoftmaxILi4ELi16ELi4ELi16ELi32ElEEvPKfPKbPfiPT4_Piiii.kd
    .uniform_work_group_size: 1
    .uses_dynamic_stack: false
    .vgpr_count:     24
    .vgpr_spill_count: 0
    .wavefront_size: 64
  - .agpr_count:     0
    .args:
      - .address_space:  global
        .offset:         0
        .size:           8
        .value_kind:     global_buffer
      - .address_space:  global
        .offset:         8
        .size:           8
        .value_kind:     global_buffer
      - .address_space:  global
        .offset:         16
        .size:           8
        .value_kind:     global_buffer
      - .offset:         24
        .size:           4
        .value_kind:     by_value
      - .address_space:  global
        .offset:         32
        .size:           8
        .value_kind:     global_buffer
      - .address_space:  global
        .offset:         40
        .size:           8
        .value_kind:     global_buffer
      - .offset:         48
        .size:           4
        .value_kind:     by_value
      - .offset:         52
        .size:           4
        .value_kind:     by_value
      - .offset:         56
        .size:           4
        .value_kind:     by_value
    .group_segment_fixed_size: 4096
    .kernarg_segment_align: 8
    .kernarg_segment_size: 60
    .language:       OpenCL C
    .language_version:
      - 2
      - 0
    .max_flat_workgroup_size: 256
    .name:           _ZN4vllm3moe17topkGatingSoftmaxILi4ELi32ELi4ELi16ELi64ElEEvPKfPKbPfiPT4_Piiii
    .private_segment_fixed_size: 0
    .sgpr_count:     25
    .sgpr_spill_count: 0
    .symbol:         _ZN4vllm3moe17topkGatingSoftmaxILi4ELi32ELi4ELi16ELi64ElEEvPKfPKbPfiPT4_Piiii.kd
    .uniform_work_group_size: 1
    .uses_dynamic_stack: false
    .vgpr_count:     25
    .vgpr_spill_count: 0
    .wavefront_size: 64
  - .agpr_count:     0
    .args:
      - .address_space:  global
        .offset:         0
        .size:           8
        .value_kind:     global_buffer
      - .address_space:  global
        .offset:         8
        .size:           8
        .value_kind:     global_buffer
      - .address_space:  global
        .offset:         16
        .size:           8
        .value_kind:     global_buffer
      - .offset:         24
        .size:           4
        .value_kind:     by_value
      - .address_space:  global
        .offset:         32
        .size:           8
        .value_kind:     global_buffer
      - .address_space:  global
        .offset:         40
        .size:           8
        .value_kind:     global_buffer
      - .offset:         48
        .size:           4
        .value_kind:     by_value
      - .offset:         52
        .size:           4
        .value_kind:     by_value
      - .offset:         56
        .size:           4
        .value_kind:     by_value
    .group_segment_fixed_size: 2048
    .kernarg_segment_align: 8
    .kernarg_segment_size: 60
    .language:       OpenCL C
    .language_version:
      - 2
      - 0
    .max_flat_workgroup_size: 128
    .name:           _ZN4vllm3moe17topkGatingSoftmaxILi4ELi32ELi4ELi16ELi32ElEEvPKfPKbPfiPT4_Piiii
    .private_segment_fixed_size: 0
    .sgpr_count:     25
    .sgpr_spill_count: 0
    .symbol:         _ZN4vllm3moe17topkGatingSoftmaxILi4ELi32ELi4ELi16ELi32ElEEvPKfPKbPfiPT4_Piiii.kd
    .uniform_work_group_size: 1
    .uses_dynamic_stack: false
    .vgpr_count:     25
    .vgpr_spill_count: 0
    .wavefront_size: 64
  - .agpr_count:     0
    .args:
      - .address_space:  global
        .offset:         0
        .size:           8
        .value_kind:     global_buffer
      - .address_space:  global
        .offset:         8
        .size:           8
        .value_kind:     global_buffer
      - .address_space:  global
        .offset:         16
        .size:           8
        .value_kind:     global_buffer
      - .offset:         24
        .size:           4
        .value_kind:     by_value
      - .address_space:  global
        .offset:         32
        .size:           8
        .value_kind:     global_buffer
      - .address_space:  global
        .offset:         40
        .size:           8
        .value_kind:     global_buffer
      - .offset:         48
        .size:           4
        .value_kind:     by_value
      - .offset:         52
        .size:           4
        .value_kind:     by_value
      - .offset:         56
        .size:           4
        .value_kind:     by_value
    .group_segment_fixed_size: 4096
    .kernarg_segment_align: 8
    .kernarg_segment_size: 60
    .language:       OpenCL C
    .language_version:
      - 2
      - 0
    .max_flat_workgroup_size: 256
    .name:           _ZN4vllm3moe17topkGatingSoftmaxILi4ELi64ELi4ELi16ELi64ElEEvPKfPKbPfiPT4_Piiii
    .private_segment_fixed_size: 0
    .sgpr_count:     25
    .sgpr_spill_count: 0
    .symbol:         _ZN4vllm3moe17topkGatingSoftmaxILi4ELi64ELi4ELi16ELi64ElEEvPKfPKbPfiPT4_Piiii.kd
    .uniform_work_group_size: 1
    .uses_dynamic_stack: false
    .vgpr_count:     26
    .vgpr_spill_count: 0
    .wavefront_size: 64
  - .agpr_count:     0
    .args:
      - .address_space:  global
        .offset:         0
        .size:           8
        .value_kind:     global_buffer
      - .address_space:  global
        .offset:         8
        .size:           8
        .value_kind:     global_buffer
      - .address_space:  global
        .offset:         16
        .size:           8
        .value_kind:     global_buffer
      - .offset:         24
        .size:           4
        .value_kind:     by_value
      - .address_space:  global
        .offset:         32
        .size:           8
        .value_kind:     global_buffer
      - .address_space:  global
        .offset:         40
        .size:           8
        .value_kind:     global_buffer
      - .offset:         48
        .size:           4
        .value_kind:     by_value
      - .offset:         52
        .size:           4
        .value_kind:     by_value
      - .offset:         56
        .size:           4
        .value_kind:     by_value
    .group_segment_fixed_size: 2048
    .kernarg_segment_align: 8
    .kernarg_segment_size: 60
    .language:       OpenCL C
    .language_version:
      - 2
      - 0
    .max_flat_workgroup_size: 128
    .name:           _ZN4vllm3moe17topkGatingSoftmaxILi4ELi64ELi4ELi16ELi32ElEEvPKfPKbPfiPT4_Piiii
    .private_segment_fixed_size: 0
    .sgpr_count:     25
    .sgpr_spill_count: 0
    .symbol:         _ZN4vllm3moe17topkGatingSoftmaxILi4ELi64ELi4ELi16ELi32ElEEvPKfPKbPfiPT4_Piiii.kd
    .uniform_work_group_size: 1
    .uses_dynamic_stack: false
    .vgpr_count:     26
    .vgpr_spill_count: 0
    .wavefront_size: 64
  - .agpr_count:     0
    .args:
      - .address_space:  global
        .offset:         0
        .size:           8
        .value_kind:     global_buffer
      - .address_space:  global
        .offset:         8
        .size:           8
        .value_kind:     global_buffer
      - .address_space:  global
        .offset:         16
        .size:           8
        .value_kind:     global_buffer
      - .offset:         24
        .size:           4
        .value_kind:     by_value
      - .address_space:  global
        .offset:         32
        .size:           8
        .value_kind:     global_buffer
      - .address_space:  global
        .offset:         40
        .size:           8
        .value_kind:     global_buffer
      - .offset:         48
        .size:           4
        .value_kind:     by_value
      - .offset:         52
        .size:           4
        .value_kind:     by_value
      - .offset:         56
        .size:           4
        .value_kind:     by_value
    .group_segment_fixed_size: 4096
    .kernarg_segment_align: 8
    .kernarg_segment_size: 60
    .language:       OpenCL C
    .language_version:
      - 2
      - 0
    .max_flat_workgroup_size: 256
    .name:           _ZN4vllm3moe17topkGatingSoftmaxILi4ELi128ELi4ELi16ELi64ElEEvPKfPKbPfiPT4_Piiii
    .private_segment_fixed_size: 0
    .sgpr_count:     25
    .sgpr_spill_count: 0
    .symbol:         _ZN4vllm3moe17topkGatingSoftmaxILi4ELi128ELi4ELi16ELi64ElEEvPKfPKbPfiPT4_Piiii.kd
    .uniform_work_group_size: 1
    .uses_dynamic_stack: false
    .vgpr_count:     27
    .vgpr_spill_count: 0
    .wavefront_size: 64
  - .agpr_count:     0
    .args:
      - .address_space:  global
        .offset:         0
        .size:           8
        .value_kind:     global_buffer
      - .address_space:  global
        .offset:         8
        .size:           8
        .value_kind:     global_buffer
      - .address_space:  global
        .offset:         16
        .size:           8
        .value_kind:     global_buffer
      - .offset:         24
        .size:           4
        .value_kind:     by_value
      - .address_space:  global
        .offset:         32
        .size:           8
        .value_kind:     global_buffer
      - .address_space:  global
        .offset:         40
        .size:           8
        .value_kind:     global_buffer
      - .offset:         48
        .size:           4
        .value_kind:     by_value
      - .offset:         52
        .size:           4
        .value_kind:     by_value
      - .offset:         56
        .size:           4
        .value_kind:     by_value
    .group_segment_fixed_size: 2048
    .kernarg_segment_align: 8
    .kernarg_segment_size: 60
    .language:       OpenCL C
    .language_version:
      - 2
      - 0
    .max_flat_workgroup_size: 128
    .name:           _ZN4vllm3moe17topkGatingSoftmaxILi4ELi128ELi4ELi16ELi32ElEEvPKfPKbPfiPT4_Piiii
    .private_segment_fixed_size: 0
    .sgpr_count:     25
    .sgpr_spill_count: 0
    .symbol:         _ZN4vllm3moe17topkGatingSoftmaxILi4ELi128ELi4ELi16ELi32ElEEvPKfPKbPfiPT4_Piiii.kd
    .uniform_work_group_size: 1
    .uses_dynamic_stack: false
    .vgpr_count:     27
    .vgpr_spill_count: 0
    .wavefront_size: 64
  - .agpr_count:     0
    .args:
      - .address_space:  global
        .offset:         0
        .size:           8
        .value_kind:     global_buffer
      - .address_space:  global
        .offset:         8
        .size:           8
        .value_kind:     global_buffer
      - .address_space:  global
        .offset:         16
        .size:           8
        .value_kind:     global_buffer
      - .offset:         24
        .size:           4
        .value_kind:     by_value
      - .address_space:  global
        .offset:         32
        .size:           8
        .value_kind:     global_buffer
      - .address_space:  global
        .offset:         40
        .size:           8
        .value_kind:     global_buffer
      - .offset:         48
        .size:           4
        .value_kind:     by_value
      - .offset:         52
        .size:           4
        .value_kind:     by_value
      - .offset:         56
        .size:           4
        .value_kind:     by_value
    .group_segment_fixed_size: 4096
    .kernarg_segment_align: 8
    .kernarg_segment_size: 60
    .language:       OpenCL C
    .language_version:
      - 2
      - 0
    .max_flat_workgroup_size: 256
    .name:           _ZN4vllm3moe17topkGatingSoftmaxILi4ELi256ELi4ELi16ELi64ElEEvPKfPKbPfiPT4_Piiii
    .private_segment_fixed_size: 0
    .sgpr_count:     25
    .sgpr_spill_count: 0
    .symbol:         _ZN4vllm3moe17topkGatingSoftmaxILi4ELi256ELi4ELi16ELi64ElEEvPKfPKbPfiPT4_Piiii.kd
    .uniform_work_group_size: 1
    .uses_dynamic_stack: false
    .vgpr_count:     28
    .vgpr_spill_count: 0
    .wavefront_size: 64
  - .agpr_count:     0
    .args:
      - .address_space:  global
        .offset:         0
        .size:           8
        .value_kind:     global_buffer
      - .address_space:  global
        .offset:         8
        .size:           8
        .value_kind:     global_buffer
      - .address_space:  global
        .offset:         16
        .size:           8
        .value_kind:     global_buffer
      - .offset:         24
        .size:           4
        .value_kind:     by_value
      - .address_space:  global
        .offset:         32
        .size:           8
        .value_kind:     global_buffer
      - .address_space:  global
        .offset:         40
        .size:           8
        .value_kind:     global_buffer
      - .offset:         48
        .size:           4
        .value_kind:     by_value
      - .offset:         52
        .size:           4
        .value_kind:     by_value
      - .offset:         56
        .size:           4
        .value_kind:     by_value
    .group_segment_fixed_size: 4096
    .kernarg_segment_align: 8
    .kernarg_segment_size: 60
    .language:       OpenCL C
    .language_version:
      - 2
      - 0
    .max_flat_workgroup_size: 128
    .name:           _ZN4vllm3moe17topkGatingSoftmaxILi8ELi256ELi4ELi16ELi32ElEEvPKfPKbPfiPT4_Piiii
    .private_segment_fixed_size: 0
    .sgpr_count:     25
    .sgpr_spill_count: 0
    .symbol:         _ZN4vllm3moe17topkGatingSoftmaxILi8ELi256ELi4ELi16ELi32ElEEvPKfPKbPfiPT4_Piiii.kd
    .uniform_work_group_size: 1
    .uses_dynamic_stack: false
    .vgpr_count:     38
    .vgpr_spill_count: 0
    .wavefront_size: 64
  - .agpr_count:     0
    .args:
      - .address_space:  global
        .offset:         0
        .size:           8
        .value_kind:     global_buffer
      - .address_space:  global
        .offset:         8
        .size:           8
        .value_kind:     global_buffer
      - .address_space:  global
        .offset:         16
        .size:           8
        .value_kind:     global_buffer
      - .offset:         24
        .size:           4
        .value_kind:     by_value
      - .address_space:  global
        .offset:         32
        .size:           8
        .value_kind:     global_buffer
      - .address_space:  global
        .offset:         40
        .size:           8
        .value_kind:     global_buffer
      - .offset:         48
        .size:           4
        .value_kind:     by_value
      - .offset:         52
        .size:           4
        .value_kind:     by_value
      - .offset:         56
        .size:           4
        .value_kind:     by_value
    .group_segment_fixed_size: 8192
    .kernarg_segment_align: 8
    .kernarg_segment_size: 60
    .language:       OpenCL C
    .language_version:
      - 2
      - 0
    .max_flat_workgroup_size: 256
    .name:           _ZN4vllm3moe17topkGatingSoftmaxILi8ELi512ELi4ELi16ELi64ElEEvPKfPKbPfiPT4_Piiii
    .private_segment_fixed_size: 0
    .sgpr_count:     25
    .sgpr_spill_count: 0
    .symbol:         _ZN4vllm3moe17topkGatingSoftmaxILi8ELi512ELi4ELi16ELi64ElEEvPKfPKbPfiPT4_Piiii.kd
    .uniform_work_group_size: 1
    .uses_dynamic_stack: false
    .vgpr_count:     39
    .vgpr_spill_count: 0
    .wavefront_size: 64
  - .agpr_count:     0
    .args:
      - .address_space:  global
        .offset:         0
        .size:           8
        .value_kind:     global_buffer
      - .address_space:  global
        .offset:         8
        .size:           8
        .value_kind:     global_buffer
      - .address_space:  global
        .offset:         16
        .size:           8
        .value_kind:     global_buffer
      - .offset:         24
        .size:           4
        .value_kind:     by_value
      - .address_space:  global
        .offset:         32
        .size:           8
        .value_kind:     global_buffer
      - .address_space:  global
        .offset:         40
        .size:           8
        .value_kind:     global_buffer
      - .offset:         48
        .size:           4
        .value_kind:     by_value
      - .offset:         52
        .size:           4
        .value_kind:     by_value
      - .offset:         56
        .size:           4
        .value_kind:     by_value
    .group_segment_fixed_size: 0
    .kernarg_segment_align: 8
    .kernarg_segment_size: 60
    .language:       OpenCL C
    .language_version:
      - 2
      - 0
    .max_flat_workgroup_size: 128
    .name:           _ZN4vllm3moe17topkGatingSoftmaxILi16ELi512ELi4ELi16ELi32ElEEvPKfPKbPfiPT4_Piiii
    .private_segment_fixed_size: 80
    .sgpr_count:     29
    .sgpr_spill_count: 0
    .symbol:         _ZN4vllm3moe17topkGatingSoftmaxILi16ELi512ELi4ELi16ELi32ElEEvPKfPKbPfiPT4_Piiii.kd
    .uniform_work_group_size: 1
    .uses_dynamic_stack: false
    .vgpr_count:     49
    .vgpr_spill_count: 0
    .wavefront_size: 64
  - .agpr_count:     0
    .args:
      - .address_space:  global
        .offset:         0
        .size:           8
        .value_kind:     global_buffer
      - .address_space:  global
        .offset:         8
        .size:           8
        .value_kind:     global_buffer
      - .address_space:  global
        .offset:         16
        .size:           8
        .value_kind:     global_buffer
      - .address_space:  global
        .offset:         24
        .size:           8
        .value_kind:     global_buffer
      - .address_space:  global
        .offset:         32
        .size:           8
        .value_kind:     global_buffer
      - .offset:         40
        .size:           4
        .value_kind:     by_value
      - .offset:         44
        .size:           4
        .value_kind:     by_value
      - .offset:         48
        .size:           4
        .value_kind:     by_value
      - .offset:         52
        .size:           4
        .value_kind:     by_value
      - .offset:         56
        .size:           4
        .value_kind:     hidden_block_count_x
      - .offset:         60
        .size:           4
        .value_kind:     hidden_block_count_y
      - .offset:         64
        .size:           4
        .value_kind:     hidden_block_count_z
      - .offset:         68
        .size:           2
        .value_kind:     hidden_group_size_x
      - .offset:         70
        .size:           2
        .value_kind:     hidden_group_size_y
      - .offset:         72
        .size:           2
        .value_kind:     hidden_group_size_z
      - .offset:         74
        .size:           2
        .value_kind:     hidden_remainder_x
      - .offset:         76
        .size:           2
        .value_kind:     hidden_remainder_y
      - .offset:         78
        .size:           2
        .value_kind:     hidden_remainder_z
      - .offset:         96
        .size:           8
        .value_kind:     hidden_global_offset_x
      - .offset:         104
        .size:           8
        .value_kind:     hidden_global_offset_y
      - .offset:         112
        .size:           8
        .value_kind:     hidden_global_offset_z
      - .offset:         120
        .size:           2
        .value_kind:     hidden_grid_dims
      - .offset:         136
        .size:           8
        .value_kind:     hidden_hostcall_buffer
    .group_segment_fixed_size: 32
    .kernarg_segment_align: 8
    .kernarg_segment_size: 312
    .language:       OpenCL C
    .language_version:
      - 2
      - 0
    .max_flat_workgroup_size: 256
    .name:           _ZN4vllm3moe7moeTopKILi256ElEEvPKfPKbPfPT0_Piiiii
    .private_segment_fixed_size: 64
    .sgpr_count:     59
    .sgpr_spill_count: 0
    .symbol:         _ZN4vllm3moe7moeTopKILi256ElEEvPKfPKbPfPT0_Piiiii.kd
    .uniform_work_group_size: 1
    .uses_dynamic_stack: false
    .vgpr_count:     41
    .vgpr_spill_count: 0
    .wavefront_size: 64
amdhsa.target:   amdgcn-amd-amdhsa--gfx90a
amdhsa.version:
  - 1
  - 2
...

	.end_amdgpu_metadata
